;; amdgpu-corpus repo=ROCm/rocFFT kind=compiled arch=gfx1100 opt=O3
	.text
	.amdgcn_target "amdgcn-amd-amdhsa--gfx1100"
	.amdhsa_code_object_version 6
	.protected	bluestein_single_fwd_len3600_dim1_half_op_CI_CI ; -- Begin function bluestein_single_fwd_len3600_dim1_half_op_CI_CI
	.globl	bluestein_single_fwd_len3600_dim1_half_op_CI_CI
	.p2align	8
	.type	bluestein_single_fwd_len3600_dim1_half_op_CI_CI,@function
bluestein_single_fwd_len3600_dim1_half_op_CI_CI: ; @bluestein_single_fwd_len3600_dim1_half_op_CI_CI
; %bb.0:
	s_load_b128 s[16:19], s[0:1], 0x28
	v_mul_u32_u24_e32 v1, 0x223, v0
	s_mov_b32 s2, exec_lo
	v_mov_b32_e32 v152, 0
	s_delay_alu instid0(VALU_DEP_2) | instskip(NEXT) | instid1(VALU_DEP_1)
	v_lshrrev_b32_e32 v1, 16, v1
	v_add_nc_u32_e32 v151, s15, v1
	s_waitcnt lgkmcnt(0)
	s_delay_alu instid0(VALU_DEP_1)
	v_cmpx_gt_u64_e64 s[16:17], v[151:152]
	s_cbranch_execz .LBB0_2
; %bb.1:
	s_clause 0x1
	s_load_b128 s[8:11], s[0:1], 0x18
	s_load_b128 s[4:7], s[0:1], 0x0
	v_mul_lo_u16 v1, 0x78, v1
	s_load_b64 s[0:1], s[0:1], 0x38
	s_delay_alu instid0(VALU_DEP_1) | instskip(NEXT) | instid1(VALU_DEP_1)
	v_sub_nc_u16 v38, v0, v1
	v_and_b32_e32 v155, 0xffff, v38
	s_waitcnt lgkmcnt(0)
	s_load_b128 s[12:15], s[8:9], 0x0
	s_add_u32 s2, s4, 0x3840
	s_addc_u32 s3, s5, 0
	s_waitcnt lgkmcnt(0)
	v_mad_u64_u32 v[0:1], null, s14, v151, 0
	v_mad_u64_u32 v[2:3], null, s12, v155, 0
	s_mul_i32 s9, s13, 0x5a0
	s_mul_hi_u32 s14, s12, 0x5a0
	s_mul_i32 s8, s12, 0x5a0
	s_add_i32 s9, s14, s9
	s_mul_i32 s14, s13, 0xffffcf40
	s_delay_alu instid0(VALU_DEP_1) | instskip(SKIP_1) | instid1(VALU_DEP_1)
	v_mad_u64_u32 v[4:5], null, s15, v151, v[1:2]
	s_sub_i32 s14, s14, s12
	v_mad_u64_u32 v[5:6], null, s13, v155, v[3:4]
	v_mov_b32_e32 v1, v4
	s_delay_alu instid0(VALU_DEP_1) | instskip(NEXT) | instid1(VALU_DEP_3)
	v_lshlrev_b64 v[0:1], 2, v[0:1]
	v_mov_b32_e32 v3, v5
	s_delay_alu instid0(VALU_DEP_2) | instskip(NEXT) | instid1(VALU_DEP_2)
	v_add_co_u32 v34, vcc_lo, s18, v0
	v_lshlrev_b64 v[2:3], 2, v[2:3]
	s_delay_alu instid0(VALU_DEP_4) | instskip(SKIP_1) | instid1(VALU_DEP_3)
	v_add_co_ci_u32_e32 v35, vcc_lo, s19, v1, vcc_lo
	v_or_b32_e32 v0, 0x780, v155
	v_add_co_u32 v6, vcc_lo, v34, v2
	s_delay_alu instid0(VALU_DEP_3) | instskip(NEXT) | instid1(VALU_DEP_3)
	v_add_co_ci_u32_e32 v7, vcc_lo, v35, v3, vcc_lo
	v_mov_b32_e32 v1, v0
	s_delay_alu instid0(VALU_DEP_3) | instskip(NEXT) | instid1(VALU_DEP_3)
	v_add_co_u32 v10, vcc_lo, v6, s8
	v_add_co_ci_u32_e32 v11, vcc_lo, s9, v7, vcc_lo
	v_mad_u64_u32 v[2:3], null, s12, v0, 0
	s_delay_alu instid0(VALU_DEP_3) | instskip(NEXT) | instid1(VALU_DEP_3)
	v_add_co_u32 v12, vcc_lo, v10, s8
	v_add_co_ci_u32_e32 v13, vcc_lo, s9, v11, vcc_lo
	v_mov_b32_e32 v52, v1
	s_delay_alu instid0(VALU_DEP_3) | instskip(NEXT) | instid1(VALU_DEP_3)
	v_add_co_u32 v18, vcc_lo, v12, s8
	v_add_co_ci_u32_e32 v19, vcc_lo, s9, v13, vcc_lo
	v_mov_b32_e32 v0, v3
	s_delay_alu instid0(VALU_DEP_3) | instskip(NEXT) | instid1(VALU_DEP_3)
	v_add_co_u32 v20, vcc_lo, v18, s8
	v_add_co_ci_u32_e32 v21, vcc_lo, s9, v19, vcc_lo
	s_delay_alu instid0(VALU_DEP_3) | instskip(NEXT) | instid1(VALU_DEP_3)
	v_mad_u64_u32 v[3:4], null, s13, v1, v[0:1]
	v_add_co_u32 v22, vcc_lo, v20, s8
	s_delay_alu instid0(VALU_DEP_3) | instskip(SKIP_1) | instid1(VALU_DEP_3)
	v_add_co_ci_u32_e32 v23, vcc_lo, s9, v21, vcc_lo
	v_lshlrev_b32_e32 v135, 2, v155
	v_add_co_u32 v24, vcc_lo, v22, s8
	s_delay_alu instid0(VALU_DEP_3) | instskip(SKIP_1) | instid1(VALU_DEP_3)
	v_add_co_ci_u32_e32 v25, vcc_lo, s9, v23, vcc_lo
	v_lshlrev_b64 v[2:3], 2, v[2:3]
	v_add_co_u32 v26, vcc_lo, v24, s8
	s_delay_alu instid0(VALU_DEP_3) | instskip(SKIP_1) | instid1(VALU_DEP_3)
	v_add_co_ci_u32_e32 v27, vcc_lo, s9, v25, vcc_lo
	v_add_nc_u32_e32 v115, 0x600, v135
	v_add_co_u32 v28, vcc_lo, v26, s8
	s_delay_alu instid0(VALU_DEP_3) | instskip(SKIP_1) | instid1(VALU_DEP_3)
	v_add_co_ci_u32_e32 v29, vcc_lo, s9, v27, vcc_lo
	v_add_nc_u32_e32 v110, 0x1200, v135
	v_add_co_u32 v30, vcc_lo, v28, s8
	s_delay_alu instid0(VALU_DEP_3) | instskip(SKIP_3) | instid1(VALU_DEP_4)
	v_add_co_ci_u32_e32 v31, vcc_lo, s9, v29, vcc_lo
	v_add_nc_u32_e32 v139, 0x1c00, v135
	v_add_nc_u32_e32 v105, 0x2800, v135
	;; [unrolled: 1-line block ×3, first 2 shown]
	v_mad_u64_u32 v[32:33], null, 0xffffcf40, s12, v[30:31]
	v_add_nc_u32_e32 v131, 0xa00, v135
	v_add_nc_u32_e32 v148, 0x2000, v135
	;; [unrolled: 1-line block ×5, first 2 shown]
	scratch_store_b32 off, v52, off offset:184 ; 4-byte Folded Spill
	v_add_nc_u32_e32 v33, s14, v33
	v_add_co_u32 v16, vcc_lo, v32, s8
	v_lshlrev_b32_e32 v69, 2, v52
	v_add_nc_u32_e32 v145, 0x2400, v135
	s_delay_alu instid0(VALU_DEP_4) | instskip(NEXT) | instid1(VALU_DEP_4)
	v_add_co_ci_u32_e32 v17, vcc_lo, s9, v33, vcc_lo
	v_add_co_u32 v14, vcc_lo, v16, s8
	v_add_nc_u32_e32 v142, 0x1a00, v135
	s_delay_alu instid0(VALU_DEP_3) | instskip(NEXT) | instid1(VALU_DEP_3)
	v_add_co_ci_u32_e32 v15, vcc_lo, s9, v17, vcc_lo
	v_add_co_u32 v8, vcc_lo, v14, s8
	v_add_nc_u32_e32 v134, 0x3000, v135
	s_delay_alu instid0(VALU_DEP_3) | instskip(NEXT) | instid1(VALU_DEP_3)
	v_add_co_ci_u32_e32 v9, vcc_lo, s9, v15, vcc_lo
	v_add_co_u32 v4, vcc_lo, v8, s8
	v_add_nc_u32_e32 v154, 0x200, v135
	s_delay_alu instid0(VALU_DEP_3) | instskip(SKIP_2) | instid1(VALU_DEP_3)
	v_add_co_ci_u32_e32 v5, vcc_lo, s9, v9, vcc_lo
	v_add_co_u32 v2, vcc_lo, v34, v2
	v_add_co_ci_u32_e32 v3, vcc_lo, v35, v3, vcc_lo
	v_mad_u64_u32 v[0:1], null, 0xb40, s12, v[4:5]
	s_delay_alu instid0(VALU_DEP_1) | instskip(SKIP_1) | instid1(VALU_DEP_1)
	v_mad_u64_u32 v[34:35], null, 0xb40, s13, v[1:2]
	v_add_co_u32 v35, s13, s4, v135
	v_add_co_ci_u32_e64 v41, null, s5, 0, s13
	s_delay_alu instid0(VALU_DEP_2) | instskip(NEXT) | instid1(VALU_DEP_2)
	v_add_co_u32 v39, vcc_lo, 0x1000, v35
	v_add_co_ci_u32_e32 v40, vcc_lo, 0, v41, vcc_lo
	v_add_co_u32 v36, vcc_lo, 0x2000, v35
	v_add_co_ci_u32_e32 v37, vcc_lo, 0, v41, vcc_lo
	v_mov_b32_e32 v1, v34
	v_add_co_u32 v34, vcc_lo, 0x3000, v35
	v_add_co_ci_u32_e32 v35, vcc_lo, 0, v41, vcc_lo
	s_clause 0x13
	global_load_b32 v54, v[39:40], off offset:224
	global_load_b32 v47, v[39:40], off offset:704
	;; [unrolled: 1-line block ×20, first 2 shown]
	s_clause 0x4
	global_load_b32 v6, v[6:7], off
	global_load_b32 v7, v[10:11], off
	;; [unrolled: 1-line block ×11, first 2 shown]
	s_clause 0x7
	global_load_b32 v152, v135, s[4:5]
	global_load_b32 v205, v135, s[4:5] offset:480
	global_load_b32 v31, v135, s[4:5] offset:1920
	;; [unrolled: 1-line block ×7, first 2 shown]
	s_waitcnt vmcnt(38)
	v_lshrrev_b32_e32 v27, 16, v54
	s_waitcnt vmcnt(34)
	v_lshrrev_b32_e32 v33, 16, v55
	scratch_store_b32 off, v55, off offset:180 ; 4-byte Folded Spill
	s_waitcnt vmcnt(32)
	v_lshrrev_b32_e32 v28, 16, v198
	s_waitcnt vmcnt(18)
	v_lshrrev_b32_e32 v23, 16, v6
	s_waitcnt vmcnt(7)
	v_lshrrev_b32_e32 v25, 16, v152
	s_delay_alu instid0(VALU_DEP_1) | instskip(SKIP_2) | instid1(VALU_DEP_2)
	v_mul_f16_e32 v24, v25, v6
	s_waitcnt vmcnt(1)
	v_lshrrev_b32_e32 v26, 16, v157
	v_fma_f16 v24, v152, v23, -v24
	v_mul_f16_e32 v23, v25, v23
	s_delay_alu instid0(VALU_DEP_3) | instskip(NEXT) | instid1(VALU_DEP_2)
	v_mul_f16_e32 v25, v26, v7
	v_fmac_f16_e64 v23, v152, v6
	v_lshrrev_b32_e32 v6, 16, v7
	s_delay_alu instid0(VALU_DEP_1) | instskip(SKIP_3) | instid1(VALU_DEP_2)
	v_fma_f16 v25, v157, v6, -v25
	v_mul_f16_e32 v6, v26, v6
	s_waitcnt vmcnt(0)
	v_lshrrev_b32_e32 v26, 16, v159
	v_fmac_f16_e64 v6, v157, v7
	v_pack_b32_f16 v7, v23, v24
	v_lshrrev_b32_e32 v23, 16, v10
	s_delay_alu instid0(VALU_DEP_4) | instskip(NEXT) | instid1(VALU_DEP_4)
	v_mul_f16_e32 v24, v26, v10
	v_pack_b32_f16 v6, v6, v25
	v_lshrrev_b32_e32 v25, 16, v53
	s_delay_alu instid0(VALU_DEP_3) | instskip(SKIP_2) | instid1(VALU_DEP_2)
	v_fma_f16 v24, v159, v23, -v24
	v_mul_f16_e32 v23, v26, v23
	v_mul_f16_e32 v26, v27, v11
	v_fmac_f16_e64 v23, v159, v10
	v_lshrrev_b32_e32 v10, 16, v11
	s_delay_alu instid0(VALU_DEP_1) | instskip(SKIP_2) | instid1(VALU_DEP_2)
	v_fma_f16 v26, v54, v10, -v26
	v_mul_f16_e32 v10, v27, v10
	v_mul_f16_e32 v27, v28, v12
	v_fmac_f16_e32 v10, v54, v11
	v_lshrrev_b32_e32 v11, 16, v12
	s_delay_alu instid0(VALU_DEP_2) | instskip(NEXT) | instid1(VALU_DEP_2)
	v_pack_b32_f16 v10, v10, v26
	v_fma_f16 v27, v198, v11, -v27
	v_mul_f16_e32 v11, v28, v11
	v_mul_f16_e32 v28, v33, v13
	v_lshrrev_b32_e32 v26, 16, v51
	s_delay_alu instid0(VALU_DEP_3) | instskip(SKIP_1) | instid1(VALU_DEP_2)
	v_fmac_f16_e64 v11, v198, v12
	v_lshrrev_b32_e32 v12, 16, v13
	v_pack_b32_f16 v11, v11, v27
	s_delay_alu instid0(VALU_DEP_2) | instskip(SKIP_3) | instid1(VALU_DEP_3)
	v_fma_f16 v28, v55, v12, -v28
	v_mul_f16_e32 v12, v33, v12
	v_lshrrev_b32_e32 v27, 16, v50
	v_lshrrev_b32_e32 v33, 16, v205
	v_fmac_f16_e32 v12, v55, v13
	v_pack_b32_f16 v13, v23, v24
	v_lshrrev_b32_e32 v23, 16, v18
	v_mul_f16_e32 v24, v25, v18
	scratch_store_b32 off, v27, off offset:164 ; 4-byte Folded Spill
	v_pack_b32_f16 v12, v12, v28
	v_lshrrev_b32_e32 v28, 16, v49
	scratch_store_b32 off, v49, off offset:152 ; 4-byte Folded Spill
	v_fma_f16 v24, v53, v23, -v24
	v_mul_f16_e32 v23, v25, v23
	v_mul_f16_e32 v25, v26, v19
	s_clause 0x2
	scratch_store_b32 off, v28, off offset:156
	scratch_store_b32 off, v50, off offset:160
	;; [unrolled: 1-line block ×3, first 2 shown]
	v_fmac_f16_e32 v23, v53, v18
	v_lshrrev_b32_e32 v18, 16, v19
	s_clause 0x1
	scratch_store_b32 off, v53, off offset:172
	scratch_store_b32 off, v51, off offset:168
	v_fma_f16 v25, v51, v18, -v25
	v_mul_f16_e32 v18, v26, v18
	v_mul_f16_e32 v26, v27, v20
	s_delay_alu instid0(VALU_DEP_2) | instskip(SKIP_1) | instid1(VALU_DEP_2)
	v_fmac_f16_e32 v18, v51, v19
	v_lshrrev_b32_e32 v19, 16, v20
	v_pack_b32_f16 v18, v18, v25
	s_delay_alu instid0(VALU_DEP_2) | instskip(SKIP_3) | instid1(VALU_DEP_3)
	v_fma_f16 v26, v50, v19, -v26
	v_mul_f16_e32 v19, v27, v19
	v_mul_f16_e32 v27, v28, v21
	v_lshrrev_b32_e32 v25, 16, v29
	v_fmac_f16_e32 v19, v50, v20
	v_lshrrev_b32_e32 v20, 16, v21
	s_delay_alu instid0(VALU_DEP_2) | instskip(NEXT) | instid1(VALU_DEP_2)
	v_pack_b32_f16 v19, v19, v26
	v_fma_f16 v27, v49, v20, -v27
	v_mul_f16_e32 v20, v28, v20
	v_mul_f16_e32 v28, v33, v22
	s_delay_alu instid0(VALU_DEP_2) | instskip(SKIP_1) | instid1(VALU_DEP_2)
	v_fmac_f16_e32 v20, v49, v21
	v_lshrrev_b32_e32 v21, 16, v22
	v_pack_b32_f16 v20, v20, v27
	s_delay_alu instid0(VALU_DEP_2) | instskip(SKIP_1) | instid1(VALU_DEP_1)
	v_fma_f16 v28, v205, v21, -v28
	v_mul_f16_e32 v21, v33, v21
	v_fmac_f16_e64 v21, v205, v22
	v_pack_b32_f16 v22, v23, v24
	v_lshrrev_b32_e32 v24, 16, v31
	s_delay_alu instid0(VALU_DEP_3)
	v_pack_b32_f16 v21, v21, v28
	ds_store_b32 v135, v6 offset:1440
	ds_store_b32 v135, v13 offset:2880
	;; [unrolled: 1-line block ×9, first 2 shown]
	ds_store_2addr_b32 v135, v7, v21 offset1:120
	v_add_co_u32 v6, vcc_lo, v0, s8
	v_add_co_ci_u32_e32 v7, vcc_lo, s9, v1, vcc_lo
	global_load_b32 v22, v[16:17], off
	v_add_co_u32 v10, vcc_lo, v6, s8
	v_add_co_ci_u32_e32 v11, vcc_lo, s9, v7, vcc_lo
	scratch_store_b32 off, v24, off offset:140 ; 4-byte Folded Spill
	v_add_co_u32 v12, vcc_lo, v10, s8
	v_add_co_ci_u32_e32 v13, vcc_lo, s9, v11, vcc_lo
	scratch_store_b32 off, v25, off offset:68 ; 4-byte Folded Spill
	v_mad_u64_u32 v[16:17], null, 0xffffcf40, s12, v[12:13]
	s_delay_alu instid0(VALU_DEP_1) | instskip(NEXT) | instid1(VALU_DEP_2)
	v_add_nc_u32_e32 v17, s14, v17
	v_add_co_u32 v18, vcc_lo, v16, s8
	s_delay_alu instid0(VALU_DEP_2) | instskip(NEXT) | instid1(VALU_DEP_2)
	v_add_co_ci_u32_e32 v19, vcc_lo, s9, v17, vcc_lo
	v_add_co_u32 v20, vcc_lo, v18, s8
	global_load_b32 v18, v[18:19], off
	v_add_co_ci_u32_e32 v21, vcc_lo, s9, v19, vcc_lo
	s_waitcnt vmcnt(1)
	v_lshrrev_b32_e32 v19, 16, v22
	v_mul_f16_e32 v23, v24, v22
	s_delay_alu instid0(VALU_DEP_1) | instskip(SKIP_1) | instid1(VALU_DEP_1)
	v_fma_f16 v23, v31, v19, -v23
	v_mul_f16_e32 v19, v24, v19
	v_fmac_f16_e32 v19, v31, v22
	s_waitcnt vmcnt(0)
	v_lshrrev_b32_e32 v22, 16, v18
	v_mul_f16_e32 v24, v25, v18
	s_delay_alu instid0(VALU_DEP_1) | instskip(SKIP_1) | instid1(VALU_DEP_1)
	v_fma_f16 v24, v29, v22, -v24
	v_mul_f16_e32 v22, v25, v22
	v_fmac_f16_e32 v22, v29, v18
	v_pack_b32_f16 v18, v19, v23
	global_load_b32 v23, v135, s[4:5] offset:3840
	v_pack_b32_f16 v19, v22, v24
	v_lshrrev_b32_e32 v22, 16, v32
	ds_store_2addr_b32 v115, v18, v19 offset0:96 offset1:216
	global_load_b32 v18, v[14:15], off
	global_load_b32 v19, v[20:21], off
	v_add_co_u32 v14, vcc_lo, v20, s8
	v_add_co_ci_u32_e32 v15, vcc_lo, s9, v21, vcc_lo
	scratch_store_b32 off, v22, off offset:148 ; 4-byte Folded Spill
	s_waitcnt vmcnt(2)
	v_lshrrev_b32_e32 v24, 16, v23
	s_waitcnt vmcnt(1)
	v_lshrrev_b32_e32 v20, 16, v18
	v_mul_f16_e32 v21, v22, v18
	s_delay_alu instid0(VALU_DEP_1) | instskip(SKIP_3) | instid1(VALU_DEP_2)
	v_fma_f16 v21, v32, v20, -v21
	v_mul_f16_e32 v20, v22, v20
	s_waitcnt vmcnt(0)
	v_mul_f16_e32 v22, v24, v19
	v_fmac_f16_e32 v20, v32, v18
	v_lshrrev_b32_e32 v18, 16, v19
	s_delay_alu instid0(VALU_DEP_1) | instskip(SKIP_1) | instid1(VALU_DEP_1)
	v_fma_f16 v22, v23, v18, -v22
	v_mul_f16_e32 v18, v24, v18
	v_fmac_f16_e32 v18, v23, v19
	v_pack_b32_f16 v19, v20, v21
	v_add_nc_u32_e32 v20, 0xc00, v135
	v_lshrrev_b32_e32 v21, 16, v40
	s_delay_alu instid0(VALU_DEP_4)
	v_pack_b32_f16 v18, v18, v22
	ds_store_2addr_b32 v20, v19, v18 offset0:72 offset1:192
	global_load_b32 v18, v[8:9], off
	v_add_co_u32 v8, vcc_lo, v14, s8
	global_load_b32 v14, v[14:15], off
	v_lshrrev_b32_e32 v20, 16, v47
	v_add_co_ci_u32_e32 v9, vcc_lo, s9, v15, vcc_lo
	scratch_store_b32 off, v20, off offset:124 ; 4-byte Folded Spill
	s_waitcnt vmcnt(1)
	v_lshrrev_b32_e32 v15, 16, v18
	v_mul_f16_e32 v19, v20, v18
	s_delay_alu instid0(VALU_DEP_1) | instskip(SKIP_3) | instid1(VALU_DEP_2)
	v_fma_f16 v19, v47, v15, -v19
	v_mul_f16_e32 v15, v20, v15
	s_waitcnt vmcnt(0)
	v_mul_f16_e32 v20, v21, v14
	v_fmac_f16_e32 v15, v47, v18
	v_lshrrev_b32_e32 v18, 16, v14
	s_delay_alu instid0(VALU_DEP_1) | instskip(SKIP_1) | instid1(VALU_DEP_1)
	v_fma_f16 v20, v40, v18, -v20
	v_mul_f16_e32 v18, v21, v18
	v_fmac_f16_e32 v18, v40, v14
	v_pack_b32_f16 v14, v15, v19
	v_lshrrev_b32_e32 v19, 16, v42
	s_delay_alu instid0(VALU_DEP_3)
	v_pack_b32_f16 v15, v18, v20
	v_lshrrev_b32_e32 v18, 16, v48
	ds_store_2addr_b32 v110, v14, v15 offset0:48 offset1:168
	global_load_b32 v14, v[4:5], off
	v_add_co_u32 v4, vcc_lo, v8, s8
	global_load_b32 v8, v[8:9], off
	v_add_co_ci_u32_e32 v5, vcc_lo, s9, v9, vcc_lo
	scratch_store_b32 off, v18, off offset:132 ; 4-byte Folded Spill
	s_waitcnt vmcnt(1)
	v_lshrrev_b32_e32 v9, 16, v14
	v_mul_f16_e32 v15, v18, v14
	s_delay_alu instid0(VALU_DEP_1) | instskip(SKIP_3) | instid1(VALU_DEP_2)
	v_fma_f16 v15, v48, v9, -v15
	v_mul_f16_e32 v9, v18, v9
	s_waitcnt vmcnt(0)
	v_mul_f16_e32 v18, v19, v8
	v_fmac_f16_e32 v9, v48, v14
	v_lshrrev_b32_e32 v14, 16, v8
	s_delay_alu instid0(VALU_DEP_1) | instskip(SKIP_1) | instid1(VALU_DEP_1)
	v_fma_f16 v18, v42, v14, -v18
	v_mul_f16_e32 v14, v19, v14
	v_fmac_f16_e32 v14, v42, v8
	v_pack_b32_f16 v8, v9, v15
	s_delay_alu instid0(VALU_DEP_2)
	v_pack_b32_f16 v9, v14, v18
	v_add_nc_u32_e32 v14, 0x1800, v135
	ds_store_2addr_b32 v14, v8, v9 offset0:24 offset1:144
	global_load_b32 v14, v69, s[4:5]
	global_load_b32 v8, v[2:3], off
	v_add_co_u32 v2, vcc_lo, v4, s8
	global_load_b32 v4, v[4:5], off
	v_add_co_ci_u32_e32 v3, vcc_lo, s9, v5, vcc_lo
	s_waitcnt vmcnt(2)
	v_lshrrev_b32_e32 v15, 16, v14
	s_waitcnt vmcnt(1)
	v_lshrrev_b32_e32 v5, 16, v8
	s_clause 0x2
	scratch_store_b32 off, v14, off offset:112
	scratch_store_b32 off, v31, off offset:136
	;; [unrolled: 1-line block ×3, first 2 shown]
	v_mul_f16_e32 v9, v15, v8
	s_delay_alu instid0(VALU_DEP_1) | instskip(SKIP_2) | instid1(VALU_DEP_2)
	v_fma_f16 v9, v14, v5, -v9
	v_mul_f16_e32 v5, v15, v5
	v_lshrrev_b32_e32 v15, 16, v41
	v_fmac_f16_e32 v5, v14, v8
	s_waitcnt vmcnt(0)
	v_lshrrev_b32_e32 v8, 16, v4
	s_delay_alu instid0(VALU_DEP_3) | instskip(NEXT) | instid1(VALU_DEP_1)
	v_mul_f16_e32 v14, v15, v4
	v_fma_f16 v14, v41, v8, -v14
	v_mul_f16_e32 v8, v15, v8
	s_delay_alu instid0(VALU_DEP_1) | instskip(SKIP_2) | instid1(VALU_DEP_3)
	v_fmac_f16_e32 v8, v41, v4
	v_pack_b32_f16 v4, v5, v9
	v_lshrrev_b32_e32 v9, 16, v37
	v_pack_b32_f16 v5, v8, v14
	v_lshrrev_b32_e32 v8, 16, v45
	s_clause 0x1
	scratch_store_b32 off, v32, off offset:144
	scratch_store_b32 off, v47, off offset:120
	ds_store_2addr_b32 v139, v4, v5 offset0:128 offset1:248
	scratch_store_b32 off, v8, off offset:100 ; 4-byte Folded Spill
	global_load_b32 v4, v[0:1], off
	v_add_co_u32 v0, vcc_lo, v2, s8
	global_load_b32 v2, v[2:3], off
	v_add_co_ci_u32_e32 v1, vcc_lo, s9, v3, vcc_lo
	s_waitcnt vmcnt(1)
	v_lshrrev_b32_e32 v3, 16, v4
	v_mul_f16_e32 v5, v8, v4
	s_delay_alu instid0(VALU_DEP_1) | instskip(SKIP_3) | instid1(VALU_DEP_2)
	v_fma_f16 v5, v45, v3, -v5
	v_mul_f16_e32 v3, v8, v3
	s_waitcnt vmcnt(0)
	v_mul_f16_e32 v8, v9, v2
	v_fmac_f16_e32 v3, v45, v4
	v_lshrrev_b32_e32 v4, 16, v2
	s_delay_alu instid0(VALU_DEP_1) | instskip(SKIP_1) | instid1(VALU_DEP_1)
	v_fma_f16 v8, v37, v4, -v8
	v_mul_f16_e32 v4, v9, v4
	v_fmac_f16_e32 v4, v37, v2
	v_pack_b32_f16 v2, v3, v5
	s_delay_alu instid0(VALU_DEP_2)
	v_pack_b32_f16 v3, v4, v8
	v_add_nc_u32_e32 v4, 0x2200, v135
	ds_store_2addr_b32 v4, v2, v3 offset0:104 offset1:224
	global_load_b32 v4, v[6:7], off
	v_add_co_u32 v2, vcc_lo, v0, s8
	global_load_b32 v0, v[0:1], off
	v_lshrrev_b32_e32 v6, 16, v44
	v_add_co_ci_u32_e32 v3, vcc_lo, s9, v1, vcc_lo
	v_lshrrev_b32_e32 v7, 16, v39
	s_clause 0x9
	scratch_store_b32 off, v44, off offset:88
	scratch_store_b32 off, v6, off offset:92
	;; [unrolled: 1-line block ×10, first 2 shown]
	s_waitcnt vmcnt(1)
	v_lshrrev_b32_e32 v1, 16, v4
	v_mul_f16_e32 v5, v6, v4
	s_delay_alu instid0(VALU_DEP_1) | instskip(SKIP_3) | instid1(VALU_DEP_2)
	v_fma_f16 v5, v44, v1, -v5
	v_mul_f16_e32 v1, v6, v1
	s_waitcnt vmcnt(0)
	v_mul_f16_e32 v6, v7, v0
	v_fmac_f16_e32 v1, v44, v4
	v_lshrrev_b32_e32 v4, 16, v0
	s_delay_alu instid0(VALU_DEP_1)
	v_fma_f16 v6, v39, v4, -v6
	v_mul_f16_e32 v4, v7, v4
	v_lshrrev_b32_e32 v7, 16, v34
	s_clause 0x7
	scratch_store_b32 off, v34, off offset:8
	scratch_store_b32 off, v23, off offset:56
	;; [unrolled: 1-line block ×8, first 2 shown]
	v_fmac_f16_e32 v4, v39, v0
	v_pack_b32_f16 v0, v1, v5
	s_delay_alu instid0(VALU_DEP_2)
	v_pack_b32_f16 v1, v4, v6
	global_load_b32 v4, v[10:11], off
	v_lshrrev_b32_e32 v6, 16, v46
	s_clause 0x1
	scratch_store_b32 off, v46, off offset:104
	scratch_store_b32 off, v48, off offset:128
	ds_store_2addr_b32 v105, v0, v1 offset0:80 offset1:200
	v_add_co_u32 v0, vcc_lo, v2, s8
	scratch_store_b32 off, v6, off offset:108 ; 4-byte Folded Spill
	global_load_b32 v2, v[2:3], off
	v_add_co_ci_u32_e32 v1, vcc_lo, s9, v3, vcc_lo
	v_cmp_gt_u16_e32 vcc_lo, 0x64, v38
	s_waitcnt vmcnt(1)
	v_lshrrev_b32_e32 v3, 16, v4
	v_mul_f16_e32 v5, v6, v4
	s_delay_alu instid0(VALU_DEP_1) | instskip(SKIP_3) | instid1(VALU_DEP_2)
	v_fma_f16 v5, v46, v3, -v5
	v_mul_f16_e32 v3, v6, v3
	s_waitcnt vmcnt(0)
	v_mul_f16_e32 v6, v7, v2
	v_fmac_f16_e32 v3, v46, v4
	v_lshrrev_b32_e32 v4, 16, v2
	s_delay_alu instid0(VALU_DEP_1) | instskip(SKIP_1) | instid1(VALU_DEP_1)
	v_fma_f16 v6, v34, v4, -v6
	v_mul_f16_e32 v4, v7, v4
	v_fmac_f16_e32 v4, v34, v2
	v_pack_b32_f16 v2, v3, v5
	v_lshrrev_b32_e32 v5, 16, v36
	s_delay_alu instid0(VALU_DEP_3)
	v_pack_b32_f16 v3, v4, v6
	v_add_nc_u32_e32 v4, 0x2e00, v135
	ds_store_2addr_b32 v4, v2, v3 offset0:56 offset1:176
	global_load_b32 v2, v[12:13], off
	global_load_b32 v0, v[0:1], off
	v_lshrrev_b32_e32 v4, 16, v43
	s_clause 0x2
	scratch_store_b32 off, v36, off
	scratch_store_b32 off, v5, off offset:4
	scratch_store_b32 off, v43, off offset:72
	s_load_b128 s[8:11], s[10:11], 0x0
	scratch_store_b32 off, v4, off offset:76 ; 4-byte Folded Spill
	s_waitcnt lgkmcnt(0)
	s_mul_i32 s13, s8, 0x5a0
	s_mul_hi_u32 s12, s8, 0x5a0
	s_waitcnt vmcnt(1)
	v_lshrrev_b32_e32 v1, 16, v2
	v_mul_f16_e32 v3, v4, v2
	s_delay_alu instid0(VALU_DEP_1) | instskip(SKIP_3) | instid1(VALU_DEP_2)
	v_fma_f16 v3, v43, v1, -v3
	v_mul_f16_e32 v1, v4, v1
	s_waitcnt vmcnt(0)
	v_mul_f16_e32 v4, v5, v0
	v_fmac_f16_e32 v1, v43, v2
	v_lshrrev_b32_e32 v2, 16, v0
	s_delay_alu instid0(VALU_DEP_1) | instskip(SKIP_1) | instid1(VALU_DEP_1)
	v_fma_f16 v4, v36, v2, -v4
	v_mul_f16_e32 v2, v5, v2
	v_fmac_f16_e32 v2, v36, v0
	v_pack_b32_f16 v0, v1, v3
	v_lshrrev_b32_e32 v3, 16, v30
	scratch_store_b32 off, v30, off offset:80 ; 4-byte Folded Spill
	v_pack_b32_f16 v1, v2, v4
	scratch_store_b32 off, v3, off offset:84 ; 4-byte Folded Spill
	ds_store_2addr_b32 v68, v0, v1 offset0:32 offset1:152
	global_load_b32 v0, v[16:17], off
	s_waitcnt vmcnt(0)
	v_lshrrev_b32_e32 v1, 16, v0
	v_mul_f16_e32 v2, v3, v0
	s_delay_alu instid0(VALU_DEP_1) | instskip(SKIP_1) | instid1(VALU_DEP_1)
	v_fma_f16 v2, v30, v1, -v2
	v_mul_f16_e32 v1, v3, v1
	v_fmac_f16_e32 v1, v30, v0
	s_delay_alu instid0(VALU_DEP_1)
	v_pack_b32_f16 v0, v1, v2
	ds_store_b32 v135, v0 offset:960
	s_waitcnt lgkmcnt(0)
	s_waitcnt_vscnt null, 0x0
	s_barrier
	buffer_gl0_inv
	ds_load_2addr_b32 v[12:13], v131 offset0:80 offset1:200
	ds_load_2addr_b32 v[14:15], v187 offset0:32 offset1:152
	;; [unrolled: 1-line block ×8, first 2 shown]
	s_waitcnt lgkmcnt(7)
	v_lshrrev_b32_e32 v30, 16, v12
	s_waitcnt lgkmcnt(6)
	v_sub_f16_e32 v0, v12, v14
	s_waitcnt lgkmcnt(4)
	v_sub_f16_e32 v1, v16, v18
	v_lshrrev_b32_e32 v32, 16, v14
	v_lshrrev_b32_e32 v31, 16, v18
	;; [unrolled: 1-line block ×3, first 2 shown]
	s_waitcnt lgkmcnt(3)
	v_lshrrev_b32_e32 v34, 16, v9
	v_add_f16_e32 v20, v0, v1
	s_waitcnt lgkmcnt(2)
	v_sub_f16_e32 v0, v9, v7
	s_waitcnt lgkmcnt(0)
	v_sub_f16_e32 v1, v3, v5
	v_lshrrev_b32_e32 v36, 16, v7
	v_lshrrev_b32_e32 v35, 16, v5
	;; [unrolled: 1-line block ×3, first 2 shown]
	v_add_f16_e32 v10, v7, v5
	v_add_f16_e32 v21, v0, v1
	v_sub_f16_e32 v0, v30, v32
	v_sub_f16_e32 v1, v33, v31
	;; [unrolled: 1-line block ×6, first 2 shown]
	v_add_f16_e32 v22, v0, v1
	v_sub_f16_e32 v0, v34, v36
	v_sub_f16_e32 v1, v37, v35
	v_add_f16_e32 v40, v14, v18
	v_sub_f16_e32 v51, v14, v18
	v_sub_f16_e32 v50, v30, v33
	;; [unrolled: 1-line block ×3, first 2 shown]
	v_add_f16_e32 v23, v0, v1
	ds_load_2addr_b32 v[0:1], v154 offset0:112 offset1:232
	v_sub_f16_e32 v52, v12, v16
	s_waitcnt lgkmcnt(0)
	v_fma_f16 v24, -0.5, v10, v1
	v_lshrrev_b32_e32 v39, 16, v1
	v_add_f16_e32 v10, v36, v35
	s_delay_alu instid0(VALU_DEP_2) | instskip(NEXT) | instid1(VALU_DEP_2)
	v_add_f16_e32 v48, v39, v34
	v_fma_f16 v25, -0.5, v10, v39
	v_fmamk_f16 v10, v27, 0x3b9c, v24
	v_fmac_f16_e32 v24, 0xbb9c, v27
	s_delay_alu instid0(VALU_DEP_4) | instskip(NEXT) | instid1(VALU_DEP_4)
	v_add_f16_e32 v48, v48, v36
	v_fmamk_f16 v11, v28, 0xbb9c, v25
	s_delay_alu instid0(VALU_DEP_4)
	v_fmac_f16_e32 v10, 0x38b4, v26
	v_fmac_f16_e32 v25, 0x3b9c, v28
	;; [unrolled: 1-line block ×3, first 2 shown]
	v_add_f16_e32 v48, v48, v35
	v_fmac_f16_e32 v11, 0xb8b4, v29
	v_fmac_f16_e32 v10, 0x34f2, v21
	;; [unrolled: 1-line block ×4, first 2 shown]
	v_add_f16_e32 v48, v48, v37
	v_fmac_f16_e32 v11, 0x34f2, v23
	v_mul_f16_e32 v43, 0x3a79, v10
	v_mul_f16_e32 v44, 0xb8b4, v10
	v_fmac_f16_e32 v25, 0x34f2, v23
	s_delay_alu instid0(VALU_DEP_3) | instskip(NEXT) | instid1(VALU_DEP_3)
	v_fmac_f16_e32 v43, 0x38b4, v11
	v_fmac_f16_e32 v44, 0x3a79, v11
	ds_load_2addr_b32 v[10:11], v135 offset1:120
	s_waitcnt lgkmcnt(0)
	v_add_f16_e32 v41, v10, v12
	v_fma_f16 v40, -0.5, v40, v10
	s_delay_alu instid0(VALU_DEP_2)
	v_add_f16_e32 v45, v41, v14
	v_add_f16_e32 v41, v1, v9
	v_sub_f16_e32 v14, v14, v12
	v_add_f16_e32 v12, v12, v16
	v_fmamk_f16 v53, v50, 0x3b9c, v40
	v_add_f16_e32 v45, v45, v18
	v_add_f16_e32 v46, v41, v7
	v_lshrrev_b32_e32 v41, 16, v10
	v_sub_f16_e32 v18, v18, v16
	v_sub_f16_e32 v7, v7, v9
	v_fma_f16 v12, -0.5, v12, v10
	v_add_f16_e32 v46, v46, v5
	v_add_f16_e32 v42, v41, v30
	v_sub_f16_e32 v5, v5, v3
	v_add_f16_e32 v14, v14, v18
	v_sub_f16_e32 v18, v32, v30
	v_add_f16_e32 v46, v46, v3
	v_add_f16_e32 v47, v42, v32
	;; [unrolled: 1-line block ×7, first 2 shown]
	v_fma_f16 v1, -0.5, v3, v1
	v_sub_f16_e32 v31, v31, v33
	v_sub_f16_e32 v32, v36, v34
	v_fma_f16 v42, -0.5, v42, v41
	v_add_f16_e32 v47, v47, v33
	v_add_f16_e32 v33, v34, v37
	v_fmamk_f16 v3, v26, 0xbb9c, v1
	v_fmac_f16_e32 v1, 0x3b9c, v26
	v_sub_f16_e32 v34, v35, v37
	v_fmac_f16_e32 v41, -0.5, v30
	v_fmac_f16_e32 v39, -0.5, v33
	v_fmac_f16_e32 v3, 0x38b4, v27
	v_fmac_f16_e32 v1, 0xb8b4, v27
	v_add_f16_e32 v7, v18, v31
	v_add_f16_e32 v18, v32, v34
	v_fmamk_f16 v10, v49, 0xbb9c, v12
	v_fmac_f16_e32 v3, 0x34f2, v5
	v_fmac_f16_e32 v1, 0x34f2, v5
	v_fmamk_f16 v5, v29, 0x3b9c, v39
	v_fmac_f16_e32 v39, 0xbb9c, v29
	v_fmac_f16_e32 v12, 0x3b9c, v49
	;; [unrolled: 1-line block ×3, first 2 shown]
	v_fmamk_f16 v9, v51, 0x3b9c, v41
	v_fmac_f16_e32 v41, 0xbb9c, v51
	v_fmac_f16_e32 v39, 0x38b4, v28
	;; [unrolled: 1-line block ×11, first 2 shown]
	v_mul_f16_e32 v14, 0xb4f2, v39
	v_fmamk_f16 v54, v52, 0xbb9c, v42
	v_fmac_f16_e32 v41, 0x34f2, v7
	v_mul_f16_e32 v7, 0xb4f2, v1
	v_fmac_f16_e32 v53, 0x38b4, v49
	v_fmac_f16_e32 v14, 0xbb9c, v1
	v_mul_f16_e32 v1, 0xbb9c, v3
	v_add_f16_e32 v45, v45, v16
	v_fmac_f16_e32 v7, 0x3b9c, v39
	v_fmac_f16_e32 v54, 0xb8b4, v51
	v_add_f16_e32 v16, v41, v14
	v_fmac_f16_e32 v1, 0x34f2, v5
	v_mul_f16_e32 v5, 0x3b9c, v5
	v_fmac_f16_e32 v53, 0x34f2, v20
	v_fmac_f16_e32 v54, 0x34f2, v22
	;; [unrolled: 1-line block ×5, first 2 shown]
	v_add_f16_e32 v3, v12, v7
	v_add_f16_e32 v55, v45, v46
	v_fmac_f16_e32 v40, 0xb8b4, v49
	v_fmac_f16_e32 v42, 0x38b4, v51
	v_add_f16_e32 v56, v47, v48
	v_pack_b32_f16 v31, v3, v16
	v_add_f16_e32 v3, v9, v1
	v_add_f16_e32 v16, v10, v5
	v_sub_f16_e32 v1, v9, v1
	v_sub_f16_e32 v5, v10, v5
	v_fmac_f16_e32 v40, 0x34f2, v20
	v_fmac_f16_e32 v42, 0x34f2, v22
	v_pack_b32_f16 v30, v16, v3
	v_sub_f16_e32 v3, v53, v43
	v_sub_f16_e32 v16, v54, v44
	v_pack_b32_f16 v33, v5, v1
	v_mul_f16_e32 v5, 0xba79, v24
	v_sub_f16_e32 v1, v45, v46
	v_pack_b32_f16 v55, v55, v56
	v_pack_b32_f16 v32, v3, v16
	v_mul_f16_e32 v16, 0xba79, v25
	v_sub_f16_e32 v3, v47, v48
	v_fmac_f16_e32 v5, 0x38b4, v25
	v_add_f16_e32 v56, v53, v43
	v_add_f16_e32 v57, v54, v44
	v_fmac_f16_e32 v16, 0xb8b4, v24
	v_pack_b32_f16 v21, v1, v3
	v_add_f16_e32 v1, v40, v5
	ds_load_2addr_b32 v[9:10], v115 offset0:96 offset1:216
	ds_load_2addr_b32 v[22:23], v110 offset0:48 offset1:168
	;; [unrolled: 1-line block ×5, first 2 shown]
	v_pack_b32_f16 v56, v56, v57
	v_add_f16_e32 v3, v42, v16
	s_waitcnt lgkmcnt(0)
	s_barrier
	buffer_gl0_inv
	v_sub_f16_e32 v18, v15, v19
	v_pack_b32_f16 v20, v1, v3
	v_mul_lo_u16 v1, v38, 10
	v_sub_f16_e32 v3, v40, v5
	v_sub_f16_e32 v5, v42, v16
	;; [unrolled: 1-line block ×3, first 2 shown]
	s_delay_alu instid0(VALU_DEP_4) | instskip(SKIP_1) | instid1(VALU_DEP_2)
	v_and_b32_e32 v1, 0xffff, v1
	v_lshrrev_b32_e32 v39, 16, v22
	v_lshlrev_b32_e32 v161, 2, v1
	v_sub_f16_e32 v1, v12, v7
	v_sub_f16_e32 v7, v41, v14
	ds_store_2addr_b64 v161, v[55:56], v[30:31] offset1:1
	ds_store_2addr_b64 v161, v[20:21], v[32:33] offset0:2 offset1:3
	v_pack_b32_f16 v21, v3, v5
	v_pack_b32_f16 v20, v1, v7
	v_add_f16_e32 v1, v11, v13
	v_lshrrev_b32_e32 v3, 16, v15
	v_add_f16_e32 v5, v15, v19
	v_lshrrev_b32_e32 v14, 16, v19
	ds_store_b64 v161, v[20:21] offset:32
	v_add_f16_e32 v1, v1, v15
	v_add_f16_e32 v20, v13, v17
	v_sub_f16_e32 v7, v13, v15
	v_sub_f16_e32 v12, v15, v13
	;; [unrolled: 1-line block ×3, first 2 shown]
	v_add_f16_e32 v1, v1, v19
	v_lshrrev_b32_e32 v19, 16, v13
	v_sub_f16_e32 v21, v13, v17
	v_fma_f16 v5, -0.5, v5, v11
	v_lshrrev_b32_e32 v30, 16, v11
	v_add_f16_e32 v1, v1, v17
	v_lshrrev_b32_e32 v17, 16, v17
	v_fmac_f16_e32 v11, -0.5, v20
	v_sub_f16_e32 v20, v3, v14
	v_add_f16_e32 v12, v12, v16
	v_add_f16_e32 v33, v30, v19
	v_sub_f16_e32 v31, v19, v17
	v_sub_f16_e32 v13, v14, v17
	v_fmamk_f16 v16, v20, 0xbb9c, v11
	v_fmac_f16_e32 v11, 0x3b9c, v20
	v_lshrrev_b32_e32 v35, 16, v24
	v_lshrrev_b32_e32 v36, 16, v26
	;; [unrolled: 1-line block ×3, first 2 shown]
	v_fmac_f16_e32 v16, 0x38b4, v31
	v_fmac_f16_e32 v11, 0xb8b4, v31
	v_add_f16_e32 v7, v7, v15
	v_add_f16_e32 v15, v33, v3
	;; [unrolled: 1-line block ×3, first 2 shown]
	v_fmac_f16_e32 v16, 0x34f2, v12
	v_fmac_f16_e32 v11, 0x34f2, v12
	v_add_f16_e32 v12, v3, v14
	v_add_f16_e32 v41, v39, v40
	;; [unrolled: 1-line block ×3, first 2 shown]
	v_sub_f16_e32 v14, v17, v14
	v_sub_f16_e32 v43, v35, v36
	v_fma_f16 v32, -0.5, v12, v30
	v_add_f16_e32 v12, v19, v17
	v_sub_f16_e32 v45, v39, v40
	v_sub_f16_e32 v46, v36, v40
	;; [unrolled: 1-line block ×3, first 2 shown]
	s_delay_alu instid0(VALU_DEP_4)
	v_fmac_f16_e32 v30, -0.5, v12
	v_sub_f16_e32 v12, v3, v19
	v_sub_f16_e32 v3, v19, v3
	v_add_f16_e32 v19, v15, v17
	v_sub_f16_e32 v15, v28, v26
	v_fmamk_f16 v34, v18, 0x3b9c, v30
	v_fmac_f16_e32 v30, 0xbb9c, v18
	v_add_f16_e32 v12, v12, v13
	v_sub_f16_e32 v13, v26, v28
	v_add_f16_e32 v3, v3, v14
	v_fmac_f16_e32 v34, 0xb8b4, v21
	v_fmac_f16_e32 v30, 0x38b4, v21
	v_sub_f16_e32 v14, v22, v24
	v_sub_f16_e32 v17, v40, v36
	s_delay_alu instid0(VALU_DEP_4) | instskip(NEXT) | instid1(VALU_DEP_4)
	v_fmac_f16_e32 v34, 0x34f2, v12
	v_fmac_f16_e32 v30, 0x34f2, v12
	v_sub_f16_e32 v12, v24, v22
	v_add_f16_e32 v33, v14, v15
	v_sub_f16_e32 v15, v39, v35
	s_delay_alu instid0(VALU_DEP_3) | instskip(SKIP_1) | instid1(VALU_DEP_1)
	v_add_f16_e32 v12, v12, v13
	v_lshrrev_b32_e32 v13, 16, v9
	v_fma_f16 v37, -0.5, v37, v13
	v_add_f16_e32 v42, v13, v39
	v_fmac_f16_e32 v13, -0.5, v41
	v_add_f16_e32 v41, v22, v28
	s_delay_alu instid0(VALU_DEP_3) | instskip(SKIP_1) | instid1(VALU_DEP_3)
	v_add_f16_e32 v14, v42, v35
	v_fmamk_f16 v42, v31, 0x3b9c, v5
	v_fma_f16 v41, -0.5, v41, v9
	v_fmac_f16_e32 v5, 0xbb9c, v31
	s_delay_alu instid0(VALU_DEP_4) | instskip(NEXT) | instid1(VALU_DEP_4)
	v_add_f16_e32 v14, v14, v36
	v_fmac_f16_e32 v42, 0x38b4, v20
	s_delay_alu instid0(VALU_DEP_4)
	v_fmamk_f16 v44, v43, 0xbb9c, v41
	v_fmac_f16_e32 v41, 0x3b9c, v43
	v_fmac_f16_e32 v5, 0xb8b4, v20
	v_add_f16_e32 v36, v14, v40
	v_add_f16_e32 v14, v24, v26
	v_fmac_f16_e32 v44, 0x38b4, v45
	v_fmac_f16_e32 v41, 0xb8b4, v45
	;; [unrolled: 1-line block ×4, first 2 shown]
	v_sub_f16_e32 v20, v23, v25
	v_fmac_f16_e32 v44, 0x34f2, v12
	v_fmac_f16_e32 v41, 0x34f2, v12
	v_sub_f16_e32 v12, v35, v39
	v_fma_f16 v39, -0.5, v14, v9
	v_add_f16_e32 v35, v15, v17
	v_fmamk_f16 v15, v48, 0xbb9c, v37
	v_fmac_f16_e32 v37, 0x3b9c, v48
	v_add_f16_e32 v12, v12, v46
	v_fmamk_f16 v14, v45, 0x3b9c, v39
	v_sub_f16_e32 v46, v24, v26
	v_fmac_f16_e32 v39, 0xbb9c, v45
	v_add_f16_e32 v9, v9, v22
	v_fmamk_f16 v22, v21, 0xbb9c, v32
	v_fmac_f16_e32 v14, 0x38b4, v43
	v_fmac_f16_e32 v15, 0xb8b4, v46
	;; [unrolled: 1-line block ×6, first 2 shown]
	v_fmamk_f16 v47, v46, 0x3b9c, v13
	v_fmac_f16_e32 v13, 0xbb9c, v46
	v_fmac_f16_e32 v15, 0x34f2, v35
	v_add_f16_e32 v9, v9, v24
	v_mul_f16_e32 v17, 0x3a79, v14
	v_mul_f16_e32 v40, 0xb8b4, v14
	v_fmac_f16_e32 v22, 0xb8b4, v18
	v_fmac_f16_e32 v32, 0x38b4, v18
	v_fmac_f16_e32 v39, 0x34f2, v33
	v_fmac_f16_e32 v37, 0x34f2, v35
	v_fmac_f16_e32 v13, 0x38b4, v48
	v_fmac_f16_e32 v17, 0x38b4, v15
	v_fmac_f16_e32 v40, 0x3a79, v15
	v_add_f16_e32 v9, v9, v26
	v_fmac_f16_e32 v22, 0x34f2, v3
	v_fmac_f16_e32 v32, 0x34f2, v3
	v_mul_f16_e32 v3, 0xba79, v39
	v_mul_f16_e32 v7, 0xba79, v37
	v_fmac_f16_e32 v47, 0xb8b4, v48
	v_fmac_f16_e32 v13, 0x34f2, v12
	v_add_f16_e32 v9, v9, v28
	v_add_f16_e32 v14, v42, v17
	;; [unrolled: 1-line block ×3, first 2 shown]
	v_fmac_f16_e32 v3, 0x38b4, v37
	v_fmac_f16_e32 v7, 0xb8b4, v39
	;; [unrolled: 1-line block ×3, first 2 shown]
	v_mul_f16_e32 v49, 0xb4f2, v41
	v_mul_f16_e32 v50, 0xb4f2, v13
	v_pack_b32_f16 v15, v14, v15
	v_add_f16_e32 v14, v1, v9
	v_add_f16_e32 v24, v19, v36
	v_sub_f16_e32 v1, v1, v9
	v_sub_f16_e32 v9, v19, v36
	v_add_f16_e32 v18, v5, v3
	v_add_f16_e32 v19, v32, v7
	v_add_co_u32 v28, null, 0x78, v155
	v_fmac_f16_e32 v49, 0x3b9c, v13
	v_fmac_f16_e32 v50, 0xbb9c, v41
	v_mul_f16_e32 v41, 0x3b9c, v47
	v_pack_b32_f16 v18, v18, v19
	v_pack_b32_f16 v19, v1, v9
	v_mul_u32_u24_e32 v1, 10, v28
	v_sub_f16_e32 v3, v5, v3
	v_fmac_f16_e32 v41, 0x34f2, v44
	v_mul_f16_e32 v44, 0xbb9c, v44
	v_sub_f16_e32 v5, v32, v7
	v_lshlrev_b32_e32 v170, 2, v1
	v_sub_f16_e32 v1, v11, v49
	v_sub_f16_e32 v7, v30, v50
	v_fmac_f16_e32 v44, 0x34f2, v47
	v_add_f16_e32 v12, v11, v49
	v_add_f16_e32 v13, v30, v50
	v_pack_b32_f16 v14, v14, v24
	v_pack_b32_f16 v11, v1, v7
	v_add_f16_e32 v1, v0, v8
	v_add_f16_e32 v47, v34, v44
	v_pack_b32_f16 v13, v12, v13
	v_add_f16_e32 v12, v16, v41
	v_sub_f16_e32 v17, v42, v17
	v_add_f16_e32 v1, v1, v6
	v_sub_f16_e32 v24, v16, v41
	v_sub_f16_e32 v16, v22, v40
	;; [unrolled: 1-line block ×3, first 2 shown]
	v_pack_b32_f16 v12, v12, v47
	v_add_f16_e32 v1, v1, v4
	v_add_f16_e32 v7, v8, v2
	v_pack_b32_f16 v16, v17, v16
	v_pack_b32_f16 v17, v24, v22
	ds_store_2addr_b64 v170, v[14:15], v[12:13] offset1:1
	ds_store_2addr_b64 v170, v[18:19], v[16:17] offset0:2 offset1:3
	v_add_f16_e32 v17, v1, v2
	v_add_f16_e32 v1, v10, v23
	v_pack_b32_f16 v12, v3, v5
	v_sub_f16_e32 v5, v8, v6
	v_sub_f16_e32 v9, v6, v8
	v_lshrrev_b32_e32 v13, 16, v6
	v_add_f16_e32 v14, v6, v4
	v_sub_f16_e32 v15, v6, v4
	v_lshrrev_b32_e32 v6, 16, v4
	v_add_f16_e32 v1, v1, v25
	v_lshrrev_b32_e32 v3, 16, v8
	v_sub_f16_e32 v16, v2, v4
	v_sub_f16_e32 v4, v4, v2
	v_lshrrev_b32_e32 v18, 16, v2
	v_add_f16_e32 v1, v1, v27
	v_fma_f16 v14, -0.5, v14, v0
	v_lshrrev_b32_e32 v32, 16, v0
	v_fmac_f16_e32 v0, -0.5, v7
	v_sub_f16_e32 v7, v13, v6
	v_add_f16_e32 v31, v1, v29
	v_add_f16_e32 v1, v9, v4
	v_sub_f16_e32 v33, v3, v18
	v_add_f16_e32 v4, v32, v3
	v_fmamk_f16 v9, v7, 0xbb9c, v0
	v_fmac_f16_e32 v0, 0x3b9c, v7
	v_sub_f16_e32 v35, v6, v18
	v_sub_f16_e32 v8, v8, v2
	v_lshrrev_b32_e32 v19, 16, v25
	v_fmac_f16_e32 v9, 0x38b4, v33
	v_fmac_f16_e32 v0, 0xb8b4, v33
	v_add_f16_e32 v2, v25, v27
	v_sub_f16_e32 v21, v25, v23
	v_sub_f16_e32 v22, v25, v27
	v_fmac_f16_e32 v9, 0x34f2, v1
	v_fmac_f16_e32 v0, 0x34f2, v1
	v_add_f16_e32 v1, v13, v6
	v_lshrrev_b32_e32 v24, 16, v27
	v_sub_f16_e32 v25, v29, v27
	v_sub_f16_e32 v26, v27, v29
	v_lshrrev_b32_e32 v27, 16, v23
	v_fma_f16 v34, -0.5, v1, v32
	v_add_f16_e32 v1, v3, v18
	v_add_f16_e32 v30, v23, v29
	v_sub_f16_e32 v23, v23, v29
	v_lshrrev_b32_e32 v29, 16, v29
	v_fma_f16 v36, -0.5, v2, v10
	v_fmac_f16_e32 v32, -0.5, v1
	v_sub_f16_e32 v1, v13, v3
	v_add_f16_e32 v2, v21, v26
	v_add_f16_e32 v21, v19, v24
	;; [unrolled: 1-line block ×3, first 2 shown]
	v_sub_f16_e32 v37, v24, v29
	v_add_f16_e32 v1, v1, v35
	v_fmamk_f16 v35, v15, 0x3b9c, v32
	v_fmac_f16_e32 v32, 0xbb9c, v15
	v_add_f16_e32 v4, v4, v13
	v_add_f16_e32 v16, v5, v16
	v_sub_f16_e32 v3, v3, v13
	v_fmac_f16_e32 v35, 0xb8b4, v8
	v_fmac_f16_e32 v32, 0x38b4, v8
	v_add_f16_e32 v4, v4, v6
	v_sub_f16_e32 v5, v18, v6
	v_sub_f16_e32 v40, v27, v29
	v_fmac_f16_e32 v35, 0x34f2, v1
	v_fmac_f16_e32 v32, 0x34f2, v1
	v_lshrrev_b32_e32 v1, 16, v10
	v_fmac_f16_e32 v10, -0.5, v30
	v_add_f16_e32 v13, v4, v18
	v_add_f16_e32 v18, v3, v5
	v_sub_f16_e32 v4, v27, v19
	v_fma_f16 v21, -0.5, v21, v1
	v_add_f16_e32 v30, v1, v27
	v_fmac_f16_e32 v1, -0.5, v26
	v_sub_f16_e32 v26, v19, v27
	v_sub_f16_e32 v5, v29, v24
	v_add_f16_e32 v20, v20, v25
	v_add_f16_e32 v3, v30, v19
	v_fmamk_f16 v25, v33, 0x3b9c, v14
	v_add_f16_e32 v26, v26, v37
	v_fmamk_f16 v37, v22, 0x3b9c, v1
	v_fmac_f16_e32 v1, 0xbb9c, v22
	v_add_f16_e32 v3, v3, v24
	v_fmamk_f16 v27, v8, 0xbb9c, v34
	v_fmac_f16_e32 v25, 0x38b4, v7
	v_fmac_f16_e32 v37, 0xb8b4, v23
	;; [unrolled: 1-line block ×3, first 2 shown]
	ds_store_b64 v170, v[11:12] offset:32
	v_fmac_f16_e32 v27, 0xb8b4, v15
	v_fmac_f16_e32 v25, 0x34f2, v16
	;; [unrolled: 1-line block ×4, first 2 shown]
	v_sub_f16_e32 v26, v19, v24
	v_add_f16_e32 v24, v3, v29
	v_fmamk_f16 v3, v40, 0x3b9c, v36
	v_add_f16_e32 v19, v4, v5
	v_mul_f16_e32 v41, 0xb4f2, v1
	v_fmamk_f16 v39, v26, 0xbb9c, v10
	v_fmac_f16_e32 v10, 0x3b9c, v26
	v_fmac_f16_e32 v3, 0x38b4, v26
	v_fmamk_f16 v4, v23, 0xbb9c, v21
	v_mul_f16_e32 v42, 0x3b9c, v37
	v_fmac_f16_e32 v39, 0x38b4, v40
	v_fmac_f16_e32 v10, 0xb8b4, v40
	;; [unrolled: 1-line block ×7, first 2 shown]
	v_mul_f16_e32 v5, 0x3a79, v3
	v_fmac_f16_e32 v4, 0x34f2, v19
	v_mul_f16_e32 v6, 0xb8b4, v3
	v_fmac_f16_e32 v42, 0x34f2, v39
	v_fmac_f16_e32 v41, 0xbb9c, v10
	v_mul_f16_e32 v10, 0xb4f2, v10
	v_mul_f16_e32 v39, 0xbb9c, v39
	v_fmac_f16_e32 v36, 0xbb9c, v40
	v_fmac_f16_e32 v5, 0x38b4, v4
	v_add_f16_e32 v2, v32, v41
	v_fmac_f16_e32 v10, 0x3b9c, v1
	v_fmac_f16_e32 v39, 0x34f2, v37
	;; [unrolled: 1-line block ×5, first 2 shown]
	v_add_f16_e32 v1, v0, v10
	v_fmac_f16_e32 v36, 0xb8b4, v26
	v_add_f16_e32 v3, v25, v5
	v_add_f16_e32 v4, v27, v6
	v_sub_f16_e32 v5, v25, v5
	v_pack_b32_f16 v2, v1, v2
	v_add_f16_e32 v1, v9, v42
	v_sub_f16_e32 v9, v9, v42
	v_sub_f16_e32 v6, v27, v6
	;; [unrolled: 1-line block ×3, first 2 shown]
	v_fmac_f16_e32 v21, 0x34f2, v19
	v_fmac_f16_e32 v14, 0xbb9c, v33
	;; [unrolled: 1-line block ×4, first 2 shown]
	v_pack_b32_f16 v5, v5, v6
	v_pack_b32_f16 v6, v9, v11
	v_mul_f16_e32 v11, 0xba79, v21
	v_fmac_f16_e32 v14, 0xb8b4, v7
	v_fmac_f16_e32 v34, 0x38b4, v15
	v_mul_f16_e32 v9, 0xba79, v36
	v_sub_f16_e32 v8, v17, v31
	v_fmac_f16_e32 v11, 0xb8b4, v36
	v_sub_f16_e32 v12, v13, v24
	v_add_co_u32 v36, null, 0xf0, v155
	v_fmac_f16_e32 v14, 0x34f2, v16
	v_fmac_f16_e32 v34, 0x34f2, v18
	;; [unrolled: 1-line block ×3, first 2 shown]
	v_add_f16_e32 v37, v35, v39
	v_pack_b32_f16 v4, v3, v4
	v_add_f16_e32 v3, v17, v31
	v_add_f16_e32 v29, v13, v24
	v_pack_b32_f16 v8, v8, v12
	v_mul_u32_u24_e32 v12, 10, v36
	v_add_f16_e32 v7, v14, v9
	v_add_f16_e32 v13, v34, v11
	v_pack_b32_f16 v1, v1, v37
	v_pack_b32_f16 v3, v3, v29
	v_lshlrev_b32_e32 v169, 2, v12
	v_sub_f16_e32 v0, v0, v10
	v_pack_b32_f16 v7, v7, v13
	ds_store_2addr_b64 v169, v[3:4], v[1:2] offset1:1
	ds_store_2addr_b64 v169, v[7:8], v[5:6] offset0:2 offset1:3
	v_sub_f16_e32 v1, v14, v9
	v_sub_f16_e32 v2, v34, v11
	;; [unrolled: 1-line block ×3, first 2 shown]
	s_delay_alu instid0(VALU_DEP_2) | instskip(NEXT) | instid1(VALU_DEP_2)
	v_pack_b32_f16 v1, v1, v2
	v_pack_b32_f16 v0, v0, v3
	ds_store_b64 v169, v[0:1] offset:32
	v_and_b32_e32 v0, 0xffff, v36
	s_waitcnt lgkmcnt(0)
	s_barrier
	buffer_gl0_inv
	v_mul_u32_u24_e32 v0, 0xcccd, v0
	s_delay_alu instid0(VALU_DEP_1) | instskip(NEXT) | instid1(VALU_DEP_1)
	v_lshrrev_b32_e32 v27, 19, v0
	v_mul_lo_u16 v0, v27, 10
	s_delay_alu instid0(VALU_DEP_1) | instskip(NEXT) | instid1(VALU_DEP_1)
	v_sub_nc_u16 v29, v36, v0
	v_mul_lo_u16 v0, v29, 36
	s_delay_alu instid0(VALU_DEP_1) | instskip(NEXT) | instid1(VALU_DEP_1)
	v_and_b32_e32 v0, 0xffff, v0
	v_add_co_u32 v0, s4, s6, v0
	s_delay_alu instid0(VALU_DEP_1)
	v_add_co_ci_u32_e64 v1, null, s7, 0, s4
	s_clause 0x2
	global_load_b32 v158, v[0:1], off offset:32
	global_load_b128 v[95:98], v[0:1], off
	global_load_b128 v[101:104], v[0:1], off offset:16
	ds_load_2addr_b32 v[9:10], v142 offset0:16 offset1:136
	ds_load_2addr_b32 v[11:12], v145 offset0:96 offset1:216
	;; [unrolled: 1-line block ×9, first 2 shown]
	s_waitcnt lgkmcnt(8)
	v_lshrrev_b32_e32 v0, 16, v9
	s_waitcnt lgkmcnt(6)
	v_lshrrev_b32_e32 v1, 16, v13
	;; [unrolled: 2-line block ×3, first 2 shown]
	v_lshrrev_b32_e32 v5, 16, v14
	s_waitcnt lgkmcnt(3)
	v_lshrrev_b32_e32 v132, 16, v93
	s_waitcnt lgkmcnt(1)
	;; [unrolled: 2-line block ×3, first 2 shown]
	v_lshrrev_b32_e32 v3, 16, v100
	s_waitcnt vmcnt(2)
	v_lshrrev_b32_e32 v4, 16, v158
	s_waitcnt vmcnt(1)
	;; [unrolled: 2-line block ×3, first 2 shown]
	v_lshrrev_b32_e32 v164, 16, v102
	v_lshrrev_b32_e32 v167, 16, v96
	v_lshrrev_b32_e32 v163, 16, v104
	v_lshrrev_b32_e32 v202, 16, v101
	v_mul_f16_e64 v15, v9, v165
	v_mul_f16_e64 v25, v11, v164
	;; [unrolled: 1-line block ×3, first 2 shown]
	v_lshrrev_b32_e32 v203, 16, v103
	v_mul_f16_e64 v63, v79, v202
	v_fmac_f16_e32 v15, v0, v98
	v_mul_f16_e64 v0, v0, v165
	v_fmac_f16_e32 v24, v1, v96
	v_mul_f16_e64 v1, v1, v167
	v_lshrrev_b32_e32 v206, 16, v95
	v_lshrrev_b32_e32 v207, 16, v97
	v_fma_f16 v30, v9, v98, -v0
	ds_load_2addr_b32 v[8:9], v134 offset0:48 offset1:168
	v_lshrrev_b32_e32 v0, 16, v11
	v_fma_f16 v13, v13, v96, -v1
	v_mul_f16_e64 v70, v94, v203
	v_mul_f16_e64 v44, v23, v206
	;; [unrolled: 1-line block ×3, first 2 shown]
	v_fmac_f16_e32 v25, v0, v102
	v_mul_f16_e64 v0, v0, v164
	v_add_f16_e32 v62, v20, v13
	v_mul_f16_e32 v71, v100, v4
	s_delay_alu instid0(VALU_DEP_4) | instskip(NEXT) | instid1(VALU_DEP_4)
	v_sub_f16_e32 v51, v15, v25
	v_fma_f16 v11, v11, v102, -v0
	s_delay_alu instid0(VALU_DEP_3) | instskip(SKIP_1) | instid1(VALU_DEP_3)
	v_fmac_f16_e64 v71, v3, v158
	v_mul_f16_e32 v3, v3, v4
	v_add_f16_e32 v0, v30, v11
	s_waitcnt lgkmcnt(0)
	v_lshrrev_b32_e32 v2, 16, v8
	v_mul_f16_e64 v26, v8, v163
	s_delay_alu instid0(VALU_DEP_3)
	v_fma_f16 v37, -0.5, v0, v20
	v_fma_f16 v73, v100, v158, -v3
	v_lshrrev_b32_e32 v3, 16, v21
	v_lshrrev_b32_e32 v18, 16, v9
	v_fmac_f16_e32 v26, v2, v104
	v_mul_f16_e64 v2, v2, v163
	s_delay_alu instid0(VALU_DEP_2) | instskip(NEXT) | instid1(VALU_DEP_2)
	v_sub_f16_e32 v53, v24, v26
	v_fma_f16 v31, v8, v104, -v2
	v_lshrrev_b32_e32 v2, 16, v81
	v_lshrrev_b32_e32 v8, 16, v10
	s_delay_alu instid0(VALU_DEP_3) | instskip(SKIP_1) | instid1(VALU_DEP_4)
	v_add_f16_e32 v0, v13, v31
	v_sub_f16_e32 v1, v11, v31
	v_fmac_f16_e32 v64, v2, v97
	v_mul_f16_e64 v2, v2, v207
	s_delay_alu instid0(VALU_DEP_4) | instskip(SKIP_1) | instid1(VALU_DEP_4)
	v_fmac_f16_e32 v20, -0.5, v0
	v_sub_f16_e32 v0, v30, v13
	v_sub_f16_e32 v55, v64, v71
	s_delay_alu instid0(VALU_DEP_4) | instskip(NEXT) | instid1(VALU_DEP_4)
	v_fma_f16 v75, v81, v97, -v2
	v_fmamk_f16 v50, v51, 0xbb9c, v20
	s_delay_alu instid0(VALU_DEP_4)
	v_add_f16_e32 v46, v0, v1
	v_lshrrev_b32_e32 v1, 16, v79
	v_lshrrev_b32_e32 v0, 16, v23
	v_sub_f16_e32 v57, v75, v73
	v_fmac_f16_e32 v20, 0x3b9c, v51
	v_fmac_f16_e32 v50, 0x38b4, v53
	;; [unrolled: 1-line block ×3, first 2 shown]
	v_mul_f16_e64 v1, v1, v202
	v_fmac_f16_e32 v44, v0, v95
	v_mul_f16_e64 v0, v0, v206
	v_fmac_f16_e32 v20, 0xb8b4, v53
	v_fmac_f16_e32 v50, 0x34f2, v46
	v_fma_f16 v72, v79, v101, -v1
	v_lshrrev_b32_e32 v1, 16, v94
	v_fma_f16 v47, v23, v95, -v0
	v_add_f16_e32 v77, v44, v64
	v_fmac_f16_e32 v20, 0x34f2, v46
	v_lshrrev_b32_e32 v79, 16, v22
	v_fmac_f16_e32 v70, v1, v103
	v_mul_f16_e64 v1, v1, v203
	v_add_f16_e32 v76, v47, v75
	s_delay_alu instid0(VALU_DEP_3) | instskip(NEXT) | instid1(VALU_DEP_3)
	v_sub_f16_e32 v52, v63, v70
	v_fma_f16 v74, v94, v103, -v1
	s_delay_alu instid0(VALU_DEP_1) | instskip(SKIP_2) | instid1(VALU_DEP_3)
	v_add_f16_e32 v0, v72, v74
	v_sub_f16_e32 v1, v74, v73
	v_sub_f16_e32 v54, v72, v74
	v_fma_f16 v45, -0.5, v0, v47
	v_add_f16_e32 v0, v75, v73
	s_delay_alu instid0(VALU_DEP_1) | instskip(SKIP_1) | instid1(VALU_DEP_2)
	v_fmac_f16_e32 v47, -0.5, v0
	v_sub_f16_e32 v0, v72, v75
	v_fmamk_f16 v58, v52, 0xbb9c, v47
	s_delay_alu instid0(VALU_DEP_2) | instskip(SKIP_4) | instid1(VALU_DEP_4)
	v_add_f16_e32 v48, v0, v1
	v_add_f16_e32 v0, v63, v70
	v_sub_f16_e32 v1, v70, v71
	v_fmac_f16_e32 v47, 0x3b9c, v52
	v_fmac_f16_e32 v58, 0x38b4, v55
	v_fma_f16 v49, -0.5, v0, v44
	v_add_f16_e32 v0, v64, v71
	s_delay_alu instid0(VALU_DEP_4) | instskip(NEXT) | instid1(VALU_DEP_4)
	v_fmac_f16_e32 v47, 0xb8b4, v55
	v_fmac_f16_e32 v58, 0x34f2, v48
	s_delay_alu instid0(VALU_DEP_3) | instskip(SKIP_1) | instid1(VALU_DEP_4)
	v_fmac_f16_e32 v44, -0.5, v0
	v_sub_f16_e32 v0, v63, v64
	v_fmac_f16_e32 v47, 0x34f2, v48
	s_delay_alu instid0(VALU_DEP_3) | instskip(NEXT) | instid1(VALU_DEP_3)
	v_fmamk_f16 v59, v54, 0x3b9c, v44
	v_add_f16_e32 v56, v0, v1
	v_and_b32_e32 v0, 0xff, v38
	v_fmac_f16_e32 v44, 0xbb9c, v54
	v_mul_f16_e32 v2, 0xb4f2, v47
	v_fmac_f16_e32 v59, 0xb8b4, v57
	s_delay_alu instid0(VALU_DEP_4) | instskip(NEXT) | instid1(VALU_DEP_4)
	v_mul_lo_u16 v0, 0xcd, v0
	v_fmac_f16_e32 v44, 0x38b4, v57
	s_delay_alu instid0(VALU_DEP_3) | instskip(NEXT) | instid1(VALU_DEP_3)
	v_fmac_f16_e32 v59, 0x34f2, v56
	v_lshrrev_b16 v0, 11, v0
	s_delay_alu instid0(VALU_DEP_3) | instskip(NEXT) | instid1(VALU_DEP_2)
	v_fmac_f16_e32 v44, 0x34f2, v56
	v_mul_lo_u16 v1, v0, 10
	s_delay_alu instid0(VALU_DEP_2) | instskip(SKIP_1) | instid1(VALU_DEP_3)
	v_fmac_f16_e32 v2, 0x3b9c, v44
	v_and_b32_e32 v0, 0xffff, v0
	v_sub_nc_u16 v1, v38, v1
	s_delay_alu instid0(VALU_DEP_3) | instskip(SKIP_1) | instid1(VALU_DEP_4)
	v_add_f16_e32 v61, v20, v2
	v_sub_f16_e32 v60, v20, v2
	v_mul_u32_u24_e32 v0, 0x64, v0
	s_delay_alu instid0(VALU_DEP_4) | instskip(NEXT) | instid1(VALU_DEP_1)
	v_and_b32_e32 v1, 0xff, v1
	v_mad_u64_u32 v[40:41], null, v1, 36, s[6:7]
	s_clause 0x2
	global_load_b128 v[32:35], v[40:41], off
	global_load_b128 v[87:90], v[40:41], off offset:16
	global_load_b32 v217, v[40:41], off offset:32
	s_waitcnt vmcnt(2)
	v_lshrrev_b32_e32 v241, 16, v34
	s_waitcnt vmcnt(1)
	v_lshrrev_b32_e32 v221, 16, v87
	v_lshrrev_b32_e32 v244, 16, v32
	;; [unrolled: 1-line block ×3, first 2 shown]
	s_waitcnt vmcnt(0)
	v_lshrrev_b32_e32 v219, 16, v217
	v_mul_f16_e64 v6, v5, v241
	v_mul_f16_e64 v16, v10, v221
	;; [unrolled: 1-line block ×5, first 2 shown]
	v_fma_f16 v6, v14, v34, -v6
	v_mul_f16_e64 v14, v8, v221
	v_fmac_f16_e32 v16, v8, v87
	v_and_b32_e32 v8, 0xff, v28
	v_fmac_f16_e32 v2, v3, v32
	v_fmac_f16_e32 v7, v5, v34
	v_fma_f16 v4, v21, v32, -v4
	v_fma_f16 v14, v10, v87, -v14
	v_mul_lo_u16 v3, 0xcd, v8
	v_lshrrev_b32_e32 v10, 16, v12
	v_mul_f16_e64 v23, v9, v219
	v_lshrrev_b32_e32 v254, 16, v33
	v_lshrrev_b32_e32 v255, 16, v35
	v_lshrrev_b16 v3, 11, v3
	v_mul_f16_e64 v17, v10, v220
	v_fmac_f16_e64 v23, v18, v217
	v_lshrrev_b32_e32 v231, 16, v88
	v_lshrrev_b32_e32 v233, 16, v90
	v_mul_lo_u16 v5, v3, 10
	v_fma_f16 v17, v12, v89, -v17
	v_mul_f16_e64 v12, v12, v220
	v_sub_f16_e64 v209, v7, v23
	v_add_f16_e64 v213, v2, v7
	v_sub_nc_u16 v5, v28, v5
	v_sub_f16_e64 v208, v14, v17
	v_fmac_f16_e32 v12, v10, v89
	v_mul_f16_e64 v10, v18, v219
	v_lshrrev_b32_e32 v18, 16, v78
	v_and_b32_e32 v5, 0xff, v5
	v_add_f16_e64 v213, v213, v16
	v_sub_f16_e64 v199, v23, v12
	v_fma_f16 v19, v9, v217, -v10
	v_sub_f16_e64 v211, v16, v12
	v_mad_u64_u32 v[20:21], null, v5, 36, s[6:7]
	v_add_f16_e64 v213, v213, v12
	s_delay_alu instid0(VALU_DEP_4)
	v_sub_f16_e64 v197, v19, v17
	v_sub_f16_e64 v204, v6, v19
	v_and_b32_e32 v3, 0xffff, v3
	v_mul_lo_u16 v8, v8, 41
	v_add_f16_e64 v213, v213, v23
	global_load_b128 v[40:43], v[20:21], off
	v_mul_u32_u24_e32 v3, 0x64, v3
	v_lshrrev_b16 v8, 12, v8
	s_waitcnt vmcnt(0)
	v_lshrrev_b32_e32 v237, 16, v40
	v_lshrrev_b32_e32 v245, 16, v41
	;; [unrolled: 1-line block ×4, first 2 shown]
	s_delay_alu instid0(VALU_DEP_4) | instskip(NEXT) | instid1(VALU_DEP_1)
	v_mul_f16_e64 v9, v79, v237
	v_fma_f16 v81, v22, v40, -v9
	ds_load_2addr_b32 v[9:10], v131 offset0:80 offset1:200
	v_mul_f16_e64 v22, v22, v237
	s_delay_alu instid0(VALU_DEP_1)
	v_fmac_f16_e32 v22, v79, v40
	s_waitcnt lgkmcnt(0)
	v_lshrrev_b32_e32 v82, 16, v9
	v_mul_f16_e64 v91, v9, v254
	v_lshrrev_b32_e32 v83, 16, v10
	v_mul_f16_e64 v94, v10, v245
	s_delay_alu instid0(VALU_DEP_3) | instskip(SKIP_1) | instid1(VALU_DEP_3)
	v_fmac_f16_e32 v91, v82, v33
	v_mul_f16_e64 v82, v82, v254
	v_fmac_f16_e32 v94, v83, v41
	s_delay_alu instid0(VALU_DEP_2) | instskip(SKIP_1) | instid1(VALU_DEP_1)
	v_fma_f16 v82, v9, v33, -v82
	v_mul_f16_e64 v9, v83, v245
	v_fma_f16 v92, v10, v41, -v9
	v_mul_f16_e64 v9, v84, v239
	s_delay_alu instid0(VALU_DEP_1) | instskip(SKIP_3) | instid1(VALU_DEP_2)
	v_fma_f16 v100, v80, v42, -v9
	ds_load_2addr_b32 v[9:10], v187 offset0:32 offset1:152
	v_mul_f16_e64 v80, v80, v239
	v_add_f16_e64 v175, v81, v100
	v_fmac_f16_e32 v80, v84, v42
	s_delay_alu instid0(VALU_DEP_1) | instskip(SKIP_4) | instid1(VALU_DEP_2)
	v_add_f16_e64 v178, v22, v80
	s_waitcnt lgkmcnt(0)
	v_lshrrev_b32_e32 v85, 16, v9
	v_mul_f16_e64 v106, v9, v255
	v_mul_f16_e64 v109, v10, v248
	v_fmac_f16_e32 v106, v85, v35
	v_mul_f16_e64 v85, v85, v255
	s_delay_alu instid0(VALU_DEP_1) | instskip(SKIP_1) | instid1(VALU_DEP_1)
	v_fma_f16 v107, v9, v35, -v85
	v_lshrrev_b32_e32 v9, 16, v10
	v_mul_f16_e64 v85, v9, v248
	v_fmac_f16_e32 v109, v9, v43
	s_delay_alu instid0(VALU_DEP_2)
	v_fma_f16 v108, v10, v43, -v85
	s_clause 0x1
	global_load_b32 v166, v[20:21], off offset:32
	global_load_b128 v[83:86], v[20:21], off offset:16
	s_waitcnt vmcnt(1)
	v_lshrrev_b32_e32 v168, 16, v166
	s_waitcnt vmcnt(0)
	v_lshrrev_b32_e32 v222, 16, v83
	v_lshrrev_b32_e32 v225, 16, v84
	v_lshrrev_b32_e32 v224, 16, v85
	v_lshrrev_b32_e32 v232, 16, v86
	s_delay_alu instid0(VALU_DEP_4) | instskip(SKIP_1) | instid1(VALU_DEP_2)
	v_mul_f16_e64 v9, v18, v222
	v_mul_f16_e64 v21, v78, v222
	v_fma_f16 v20, v78, v83, -v9
	ds_load_2addr_b32 v[9:10], v148 offset0:112 offset1:232
	v_fmac_f16_e32 v21, v18, v83
	s_waitcnt lgkmcnt(0)
	v_lshrrev_b32_e32 v78, 16, v9
	v_mul_f16_e64 v79, v9, v231
	v_lshrrev_b32_e32 v111, 16, v10
	v_mul_f16_e64 v113, v10, v225
	s_delay_alu instid0(VALU_DEP_3) | instskip(SKIP_1) | instid1(VALU_DEP_3)
	v_fmac_f16_e32 v79, v78, v88
	v_mul_f16_e64 v78, v78, v231
	v_fmac_f16_e32 v113, v111, v84
	s_delay_alu instid0(VALU_DEP_3) | instskip(NEXT) | instid1(VALU_DEP_3)
	v_sub_f16_e64 v218, v106, v79
	v_fma_f16 v78, v9, v88, -v78
	v_mul_f16_e64 v9, v111, v225
	s_delay_alu instid0(VALU_DEP_4) | instskip(SKIP_1) | instid1(VALU_DEP_4)
	v_sub_f16_e64 v180, v109, v113
	v_add_f16_e64 v223, v106, v79
	v_sub_f16_e64 v228, v107, v78
	s_delay_alu instid0(VALU_DEP_4) | instskip(SKIP_1) | instid1(VALU_DEP_2)
	v_fma_f16 v112, v10, v84, -v9
	v_mul_f16_e64 v9, v132, v224
	v_add_f16_e32 v18, v108, v112
	s_delay_alu instid0(VALU_DEP_2) | instskip(SKIP_3) | instid1(VALU_DEP_2)
	v_fma_f16 v136, v93, v85, -v9
	ds_load_2addr_b32 v[9:10], v192 offset0:64 offset1:184
	v_mul_f16_e64 v93, v93, v224
	v_sub_f16_e64 v186, v20, v136
	v_fmac_f16_e64 v93, v132, v85
	s_delay_alu instid0(VALU_DEP_1) | instskip(SKIP_4) | instid1(VALU_DEP_2)
	v_sub_f16_e64 v182, v21, v93
	s_waitcnt lgkmcnt(0)
	v_lshrrev_b32_e32 v140, 16, v9
	v_mul_f16_e64 v156, v9, v233
	v_mul_f16_e64 v162, v10, v232
	v_fmac_f16_e64 v156, v140, v90
	v_mul_f16_e64 v140, v140, v233
	s_delay_alu instid0(VALU_DEP_2) | instskip(NEXT) | instid1(VALU_DEP_2)
	v_sub_f16_e64 v196, v156, v79
	v_fma_f16 v140, v9, v90, -v140
	v_lshrrev_b32_e32 v9, 16, v10
	s_delay_alu instid0(VALU_DEP_2) | instskip(NEXT) | instid1(VALU_DEP_2)
	v_sub_f16_e64 v195, v140, v78
	v_mul_f16_e64 v160, v9, v232
	v_fmac_f16_e64 v162, v9, v86
	v_add_f16_e64 v191, v82, v140
	v_sub_f16_e64 v226, v82, v140
	s_delay_alu instid0(VALU_DEP_4) | instskip(SKIP_2) | instid1(VALU_DEP_3)
	v_fma_f16 v160, v10, v86, -v160
	v_lshrrev_b32_e32 v10, 16, v99
	v_sub_f16_e64 v185, v94, v162
	v_add_f16_e64 v111, v92, v160
	s_delay_alu instid0(VALU_DEP_3) | instskip(SKIP_1) | instid1(VALU_DEP_2)
	v_mul_f16_e64 v171, v10, v168
	v_sub_f16_e64 v172, v112, v160
	v_fma_f16 v171, v99, v166, -v171
	v_mul_f16_e64 v99, v99, v168
	s_delay_alu instid0(VALU_DEP_2) | instskip(NEXT) | instid1(VALU_DEP_2)
	v_sub_f16_e64 v176, v136, v171
	v_fmac_f16_e64 v99, v10, v166
	ds_load_2addr_b32 v[9:10], v135 offset1:120
	v_sub_f16_e64 v189, v100, v171
	s_waitcnt lgkmcnt(0)
	s_barrier
	v_sub_f16_e64 v184, v80, v99
	v_sub_f16_e64 v179, v93, v99
	buffer_gl0_inv
	v_fma_f16 v18, -0.5, v18, v10
	v_lshrrev_b32_e32 v132, 16, v10
	v_add_f16_e64 v173, v10, v92
	v_fmac_f16_e32 v10, -0.5, v111
	v_sub_f16_e32 v111, v108, v92
	v_fma_f16 v191, -0.5, v191, v9
	v_lshrrev_b32_e32 v194, 16, v9
	s_delay_alu instid0(VALU_DEP_4) | instskip(NEXT) | instid1(VALU_DEP_4)
	v_fma_f16 v181, 0xbb9c, v180, v10
	v_add_f16_e64 v111, v111, v172
	v_add_f16_e64 v172, v20, v136
	v_fmac_f16_e64 v10, 0x3b9c, v180
	v_fma_f16 v223, -0.5, v223, v194
	v_fmac_f16_e64 v181, 0x38b4, v185
	s_delay_alu instid0(VALU_DEP_4)
	v_fma_f16 v174, -0.5, v172, v81
	v_add_f16_e64 v172, v100, v171
	v_fmac_f16_e64 v10, 0xb8b4, v185
	v_fma_f16 v227, 0xbb9c, v226, v223
	v_fmac_f16_e64 v223, 0x3b9c, v226
	v_fmac_f16_e64 v181, 0x34f2, v111
	v_fmac_f16_e64 v81, -0.5, v172
	v_sub_f16_e64 v172, v20, v100
	v_fmac_f16_e32 v10, 0x34f2, v111
	v_fmac_f16_e64 v223, 0x38b4, v228
	v_fmac_f16_e64 v227, 0xb8b4, v228
	v_fma_f16 v183, 0xbb9c, v182, v81
	v_add_f16_e64 v176, v172, v176
	v_add_f16_e64 v172, v21, v93
	v_fmac_f16_e64 v81, 0x3b9c, v182
	s_delay_alu instid0(VALU_DEP_4) | instskip(NEXT) | instid1(VALU_DEP_3)
	v_fmac_f16_e64 v183, 0x38b4, v184
	v_fma_f16 v177, -0.5, v172, v22
	v_add_f16_e64 v172, v80, v99
	s_delay_alu instid0(VALU_DEP_4) | instskip(NEXT) | instid1(VALU_DEP_4)
	v_fmac_f16_e64 v81, 0xb8b4, v184
	v_fmac_f16_e64 v183, 0x34f2, v176
	s_delay_alu instid0(VALU_DEP_3) | instskip(SKIP_1) | instid1(VALU_DEP_4)
	v_fmac_f16_e64 v22, -0.5, v172
	v_sub_f16_e64 v172, v21, v80
	v_fmac_f16_e64 v81, 0x34f2, v176
	s_delay_alu instid0(VALU_DEP_3) | instskip(SKIP_1) | instid1(VALU_DEP_4)
	v_fma_f16 v188, 0x3b9c, v186, v22
	v_fmac_f16_e64 v22, 0xbb9c, v186
	v_add_f16_e64 v179, v172, v179
	v_add_f16_e64 v172, v107, v78
	s_delay_alu instid0(VALU_DEP_4) | instskip(NEXT) | instid1(VALU_DEP_4)
	v_fmac_f16_e64 v188, 0xb8b4, v189
	v_fmac_f16_e64 v22, 0x38b4, v189
	s_delay_alu instid0(VALU_DEP_3) | instskip(SKIP_2) | instid1(VALU_DEP_4)
	v_fma_f16 v190, -0.5, v172, v9
	v_mul_f16_e64 v172, 0xb4f2, v81
	v_add_f16_e32 v9, v9, v82
	v_fmac_f16_e64 v22, 0x34f2, v179
	v_fmac_f16_e64 v188, 0x34f2, v179
	s_delay_alu instid0(VALU_DEP_2) | instskip(SKIP_1) | instid1(VALU_DEP_2)
	v_fmac_f16_e64 v172, 0x3b9c, v22
	v_mul_f16_e32 v22, 0xb4f2, v22
	v_add_f16_e64 v193, v10, v172
	v_sub_f16_e64 v10, v10, v172
	v_sub_f16_e64 v172, v82, v107
	v_sub_f16_e32 v82, v107, v82
	v_fmac_f16_e32 v22, 0xbb9c, v81
	s_delay_alu instid0(VALU_DEP_3) | instskip(SKIP_1) | instid1(VALU_DEP_1)
	v_add_f16_e64 v195, v172, v195
	v_sub_f16_e64 v172, v91, v106
	v_add_f16_e64 v196, v172, v196
	v_sub_f16_e64 v172, v6, v14
	s_delay_alu instid0(VALU_DEP_2) | instskip(NEXT) | instid1(VALU_DEP_2)
	v_fmac_f16_e64 v223, 0x34f2, v196
	v_add_f16_e64 v197, v172, v197
	v_sub_f16_e64 v172, v7, v16
	v_fmac_f16_e64 v227, 0x34f2, v196
	s_delay_alu instid0(VALU_DEP_2) | instskip(SKIP_1) | instid1(VALU_DEP_1)
	v_add_f16_e64 v199, v172, v199
	v_add_f16_e64 v172, v14, v17
	v_fma_f16 v200, -0.5, v172, v4
	v_add_f16_e64 v172, v16, v12
	v_sub_f16_e32 v12, v12, v23
	s_delay_alu instid0(VALU_DEP_3) | instskip(NEXT) | instid1(VALU_DEP_3)
	v_fma_f16 v210, 0x3b9c, v209, v200
	v_fma_f16 v201, -0.5, v172, v2
	v_fmac_f16_e64 v200, 0xbb9c, v209
	s_delay_alu instid0(VALU_DEP_3) | instskip(NEXT) | instid1(VALU_DEP_3)
	v_fmac_f16_e64 v210, 0x38b4, v211
	v_fma_f16 v172, 0xbb9c, v204, v201
	v_fmac_f16_e64 v201, 0x3b9c, v204
	s_delay_alu instid0(VALU_DEP_4) | instskip(NEXT) | instid1(VALU_DEP_4)
	v_fmac_f16_e64 v200, 0xb8b4, v211
	v_fmac_f16_e64 v210, 0x34f2, v197
	s_delay_alu instid0(VALU_DEP_4) | instskip(NEXT) | instid1(VALU_DEP_4)
	v_fmac_f16_e64 v172, 0xb8b4, v208
	v_fmac_f16_e64 v201, 0x38b4, v208
	s_delay_alu instid0(VALU_DEP_4) | instskip(NEXT) | instid1(VALU_DEP_3)
	v_fmac_f16_e64 v200, 0x34f2, v197
	v_fmac_f16_e64 v172, 0x34f2, v199
	s_delay_alu instid0(VALU_DEP_3) | instskip(NEXT) | instid1(VALU_DEP_2)
	v_fmac_f16_e64 v201, 0x34f2, v199
	v_mul_f16_e64 v212, 0x38b4, v172
	s_delay_alu instid0(VALU_DEP_1) | instskip(SKIP_1) | instid1(VALU_DEP_1)
	v_fmac_f16_e64 v212, 0x3a79, v210
	v_mul_f16_e64 v210, 0xb8b4, v210
	v_fmac_f16_e64 v210, 0x3a79, v172
	v_add_lshl_u32 v172, v0, v1, 2
	v_add_f16_e32 v0, v9, v107
	v_add_f16_e32 v9, v4, v6
	v_add_f16_e64 v1, v194, v91
	v_add_f16_e64 v230, v227, v210
	s_delay_alu instid0(VALU_DEP_4) | instskip(NEXT) | instid1(VALU_DEP_4)
	v_add_f16_e32 v0, v0, v78
	v_add_f16_e32 v9, v9, v14
	s_delay_alu instid0(VALU_DEP_4)
	v_add_f16_e32 v1, v1, v106
	v_sub_f16_e32 v14, v14, v6
	v_add_f16_e32 v6, v6, v19
	v_add_f16_e64 v0, v0, v140
	v_add_f16_e32 v9, v9, v17
	v_sub_f16_e32 v17, v17, v19
	v_add_f16_e32 v1, v1, v79
	v_fmac_f16_e32 v4, -0.5, v6
	v_sub_f16_e64 v78, v78, v140
	v_add_f16_e32 v9, v9, v19
	v_add_f16_e32 v6, v14, v17
	;; [unrolled: 1-line block ×3, first 2 shown]
	v_add_f16_e64 v1, v1, v156
	v_sub_f16_e32 v7, v16, v7
	v_add_f16_e64 v214, v0, v9
	v_add_f16_e32 v78, v82, v78
	v_fmac_f16_e32 v2, -0.5, v14
	v_fma_f16 v14, 0xbb9c, v211, v4
	v_fmac_f16_e64 v4, 0x3b9c, v211
	v_add_f16_e64 v215, v1, v213
	v_sub_f16_e32 v82, v106, v91
	v_fma_f16 v106, 0xbb9c, v218, v191
	v_fmac_f16_e64 v14, 0x38b4, v209
	v_fmac_f16_e64 v4, 0xb8b4, v209
	v_pack_b32_f16 v214, v214, v215
	v_sub_f16_e64 v215, v91, v156
	v_add_f16_e64 v91, v91, v156
	v_fmac_f16_e32 v14, 0x34f2, v6
	v_fmac_f16_e32 v4, 0x34f2, v6
	v_add_f16_e32 v6, v7, v12
	v_fma_f16 v7, 0x3b9c, v208, v2
	v_fmac_f16_e64 v191, 0x3b9c, v218
	v_fmac_f16_e64 v194, -0.5, v91
	v_fmac_f16_e64 v2, 0xbb9c, v208
	v_sub_f16_e64 v79, v79, v156
	v_fmac_f16_e64 v7, 0xb8b4, v204
	v_fmac_f16_e64 v106, 0x38b4, v215
	;; [unrolled: 1-line block ×3, first 2 shown]
	v_fma_f16 v19, 0x3b9c, v228, v194
	v_fmac_f16_e64 v2, 0x38b4, v204
	v_fmac_f16_e32 v7, 0x34f2, v6
	v_mul_f16_e32 v12, 0xbb9c, v14
	v_fmac_f16_e32 v106, 0x34f2, v78
	v_fmac_f16_e64 v191, 0x34f2, v78
	v_add_f16_e32 v78, v82, v79
	v_fmac_f16_e64 v194, 0xbb9c, v228
	v_fmac_f16_e64 v19, 0xb8b4, v226
	v_fmac_f16_e32 v2, 0x34f2, v6
	v_mul_f16_e32 v6, 0x3b9c, v7
	v_fmac_f16_e32 v12, 0x34f2, v7
	v_mul_f16_e32 v7, 0xb4f2, v4
	v_fmac_f16_e64 v194, 0x38b4, v226
	v_fmac_f16_e32 v19, 0x34f2, v78
	v_fmac_f16_e32 v6, 0x34f2, v14
	v_fma_f16 v216, 0x3b9c, v215, v190
	v_fmac_f16_e32 v7, 0x3b9c, v2
	v_mul_f16_e32 v2, 0xb4f2, v2
	v_fmac_f16_e64 v194, 0x34f2, v78
	v_add_f16_e32 v14, v19, v12
	v_fmac_f16_e64 v190, 0xbb9c, v215
	v_fmac_f16_e64 v216, 0x38b4, v218
	v_fmac_f16_e32 v2, 0xbb9c, v4
	v_add_f16_e32 v4, v106, v6
	v_sub_f16_e32 v0, v0, v9
	v_fmac_f16_e64 v190, 0xb8b4, v218
	v_sub_f16_e64 v1, v1, v213
	v_add_f16_e64 v16, v194, v2
	v_pack_b32_f16 v4, v4, v14
	v_add_f16_e64 v14, v191, v7
	v_fmac_f16_e64 v190, 0x34f2, v195
	v_fmac_f16_e64 v216, 0x34f2, v195
	v_pack_b32_f16 v0, v0, v1
	v_sub_f16_e32 v1, v106, v6
	v_pack_b32_f16 v14, v14, v16
	v_sub_f16_e64 v6, v227, v210
	v_sub_f16_e64 v2, v194, v2
	v_fma_f16 v17, 0x3b9c, v184, v174
	v_add_f16_e64 v229, v216, v212
	ds_store_2addr_b32 v172, v4, v14 offset0:20 offset1:30
	v_mul_f16_e64 v4, 0xba79, v200
	v_mul_f16_e64 v14, 0xba79, v201
	v_fmac_f16_e64 v17, 0x38b4, v182
	v_pack_b32_f16 v229, v229, v230
	v_fmac_f16_e64 v174, 0xbb9c, v184
	v_fmac_f16_e64 v4, 0x38b4, v201
	;; [unrolled: 1-line block ×3, first 2 shown]
	ds_store_2addr_b32 v172, v214, v229 offset1:10
	v_fmac_f16_e64 v174, 0xb8b4, v182
	v_add_f16_e64 v9, v190, v4
	v_add_f16_e64 v16, v223, v14
	s_delay_alu instid0(VALU_DEP_1)
	v_pack_b32_f16 v9, v9, v16
	v_sub_f16_e32 v16, v99, v93
	ds_store_2addr_b32 v172, v9, v0 offset0:40 offset1:50
	v_sub_f16_e64 v0, v216, v212
	v_sub_f16_e32 v9, v19, v12
	v_sub_f16_e64 v12, v171, v136
	s_delay_alu instid0(VALU_DEP_3) | instskip(NEXT) | instid1(VALU_DEP_3)
	v_pack_b32_f16 v0, v0, v6
	v_pack_b32_f16 v1, v1, v9
	v_sub_f16_e32 v6, v94, v109
	v_sub_f16_e32 v9, v100, v20
	ds_store_2addr_b32 v172, v0, v1 offset0:60 offset1:70
	v_sub_f16_e64 v0, v191, v7
	v_sub_f16_e64 v7, v162, v113
	;; [unrolled: 1-line block ×4, first 2 shown]
	v_sub_f16_e32 v14, v80, v21
	v_pack_b32_f16 v0, v0, v2
	v_add_f16_e32 v6, v6, v7
	v_add_f16_e64 v7, v175, v20
	v_pack_b32_f16 v1, v1, v4
	v_add_f16_e32 v14, v14, v16
	v_fma_f16 v16, 0xbb9c, v189, v177
	v_add_f16_e32 v9, v9, v12
	v_add_f16_e64 v7, v7, v136
	ds_store_2addr_b32 v172, v0, v1 offset0:80 offset1:90
	v_sub_f16_e32 v0, v92, v108
	v_sub_f16_e64 v1, v160, v112
	v_fmac_f16_e64 v16, 0xb8b4, v186
	v_add_f16_e64 v7, v7, v171
	v_add_lshl_u32 v171, v3, v5, 2
	v_add_f16_e64 v3, v132, v94
	v_add_f16_e32 v0, v0, v1
	v_add_f16_e64 v1, v173, v108
	v_add_f16_e64 v12, v178, v21
	v_fmac_f16_e32 v16, 0x34f2, v14
	v_add_f16_e32 v3, v3, v109
	v_fmac_f16_e32 v17, 0x34f2, v9
	v_add_f16_e32 v1, v1, v112
	v_add_f16_e32 v12, v12, v93
	v_mul_f16_e32 v19, 0x38b4, v16
	v_add_f16_e32 v3, v3, v113
	v_sub_f16_e64 v2, v92, v160
	v_add_f16_e64 v1, v1, v160
	v_add_f16_e32 v12, v12, v99
	v_fmac_f16_e32 v19, 0x3a79, v17
	v_mul_f16_e32 v17, 0xb8b4, v17
	v_add_f16_e64 v3, v3, v162
	v_add_f16_e32 v5, v1, v7
	v_sub_f16_e32 v4, v108, v112
	v_fma_f16 v20, 0x3b9c, v185, v18
	v_fmac_f16_e32 v17, 0x3a79, v16
	v_add_f16_e32 v16, v3, v12
	v_fmac_f16_e64 v177, 0x3b9c, v189
	v_fmac_f16_e64 v18, 0xbb9c, v185
	;; [unrolled: 1-line block ×4, first 2 shown]
	v_pack_b32_f16 v5, v5, v16
	v_add_f16_e32 v16, v109, v113
	v_fmac_f16_e64 v177, 0x38b4, v186
	v_fmac_f16_e32 v20, 0x34f2, v0
	v_fmac_f16_e64 v18, 0xb8b4, v180
	v_sub_f16_e32 v1, v1, v7
	v_fma_f16 v16, -0.5, v16, v132
	v_fmac_f16_e64 v177, 0x34f2, v14
	v_add_f16_e32 v23, v20, v19
	v_fmac_f16_e32 v18, 0x34f2, v0
	v_mul_f16_e64 v0, 0xba79, v174
	v_fmamk_f16 v21, v2, 0xbb9c, v16
	v_fmac_f16_e32 v16, 0x3b9c, v2
	v_sub_f16_e32 v3, v3, v12
	v_sub_f16_e32 v7, v73, v74
	v_fmac_f16_e64 v0, 0x38b4, v177
	v_fmac_f16_e32 v21, 0xb8b4, v4
	v_fmac_f16_e32 v16, 0x38b4, v4
	v_pack_b32_f16 v1, v1, v3
	v_sub_f16_e32 v9, v64, v63
	s_delay_alu instid0(VALU_DEP_4) | instskip(NEXT) | instid1(VALU_DEP_4)
	v_fmac_f16_e32 v21, 0x34f2, v6
	v_fmac_f16_e32 v16, 0x34f2, v6
	s_delay_alu instid0(VALU_DEP_2) | instskip(NEXT) | instid1(VALU_DEP_1)
	v_add_f16_e32 v78, v21, v17
	v_pack_b32_f16 v23, v23, v78
	v_mul_f16_e64 v78, 0xbb9c, v183
	ds_store_2addr_b32 v171, v5, v23 offset1:10
	v_add_f16_e64 v5, v94, v162
	v_sub_f16_e64 v23, v113, v162
	v_fmac_f16_e64 v78, 0x34f2, v188
	s_delay_alu instid0(VALU_DEP_3) | instskip(SKIP_1) | instid1(VALU_DEP_1)
	v_fmac_f16_e64 v132, -0.5, v5
	v_sub_f16_e32 v5, v109, v94
	v_add_f16_e32 v5, v5, v23
	s_delay_alu instid0(VALU_DEP_3) | instskip(SKIP_3) | instid1(VALU_DEP_4)
	v_fma_f16 v23, 0x3b9c, v4, v132
	v_fmac_f16_e64 v132, 0xbb9c, v4
	v_add_f16_e32 v4, v18, v0
	v_sub_f16_e32 v0, v18, v0
	v_fmac_f16_e32 v23, 0xb8b4, v2
	s_delay_alu instid0(VALU_DEP_4) | instskip(SKIP_1) | instid1(VALU_DEP_3)
	v_fmac_f16_e64 v132, 0x38b4, v2
	v_mul_f16_e64 v2, 0xba79, v177
	v_fmac_f16_e32 v23, 0x34f2, v5
	s_delay_alu instid0(VALU_DEP_3) | instskip(NEXT) | instid1(VALU_DEP_3)
	v_fmac_f16_e64 v132, 0x34f2, v5
	v_fmac_f16_e64 v2, 0xb8b4, v174
	v_mul_f16_e64 v5, 0x3b9c, v188
	s_delay_alu instid0(VALU_DEP_4) | instskip(NEXT) | instid1(VALU_DEP_3)
	v_add_f16_e32 v80, v23, v78
	v_add_f16_e32 v6, v16, v2
	s_delay_alu instid0(VALU_DEP_3) | instskip(SKIP_1) | instid1(VALU_DEP_3)
	v_fmac_f16_e64 v5, 0x34f2, v183
	v_sub_f16_e32 v2, v16, v2
	v_pack_b32_f16 v4, v4, v6
	s_delay_alu instid0(VALU_DEP_3)
	v_add_f16_e64 v79, v181, v5
	v_sub_f16_e64 v3, v181, v5
	v_sub_f16_e32 v5, v23, v78
	v_pack_b32_f16 v0, v0, v2
	ds_store_2addr_b32 v171, v4, v1 offset0:40 offset1:50
	v_sub_f16_e32 v1, v20, v19
	v_sub_f16_e32 v4, v21, v17
	v_pack_b32_f16 v3, v3, v5
	v_sub_f16_e32 v2, v13, v31
	v_sub_f16_e32 v5, v26, v25
	;; [unrolled: 1-line block ×3, first 2 shown]
	v_pack_b32_f16 v1, v1, v4
	v_sub_f16_e32 v4, v24, v15
	v_fmamk_f16 v17, v53, 0x3b9c, v37
	v_pack_b32_f16 v79, v79, v80
	v_add_f16_e32 v6, v6, v7
	ds_store_2addr_b32 v171, v1, v3 offset0:60 offset1:70
	v_sub_f16_e64 v1, v132, v22
	v_add_f16_e32 v4, v4, v5
	v_add_f16_e32 v5, v76, v72
	;; [unrolled: 1-line block ×3, first 2 shown]
	v_sub_f16_e32 v3, v30, v11
	v_pack_b32_f16 v1, v10, v1
	v_sub_f16_e32 v10, v71, v70
	v_add_f16_e32 v5, v5, v74
	v_add_f16_e32 v7, v7, v70
	v_fmac_f16_e32 v17, 0x38b4, v51
	ds_store_2addr_b32 v171, v1, v0 offset0:80 offset1:90
	v_sub_f16_e32 v0, v13, v30
	v_sub_f16_e32 v1, v31, v11
	v_add_f16_e32 v13, v39, v24
	v_add_f16_e32 v5, v5, v73
	;; [unrolled: 1-line block ×7, first 2 shown]
	v_fmamk_f16 v10, v57, 0xbb9c, v49
	v_add_f16_e64 v80, v132, v22
	v_fmac_f16_e32 v17, 0x34f2, v0
	v_add_f16_e32 v1, v1, v11
	v_add_f16_e32 v13, v13, v25
	v_fmac_f16_e32 v10, 0xb8b4, v54
	v_fmamk_f16 v11, v55, 0x3b9c, v45
	v_pack_b32_f16 v80, v193, v80
	v_add_f16_e32 v1, v1, v31
	v_add_f16_e32 v13, v13, v26
	v_fmac_f16_e32 v10, 0x34f2, v9
	v_fmac_f16_e32 v11, 0x38b4, v52
	;; [unrolled: 1-line block ×3, first 2 shown]
	v_add_f16_e32 v14, v1, v5
	v_add_f16_e32 v16, v13, v7
	v_mul_f16_e32 v12, 0x38b4, v10
	v_fmac_f16_e32 v11, 0x34f2, v6
	v_fmac_f16_e32 v49, 0x3b9c, v57
	ds_store_2addr_b32 v171, v79, v80 offset0:20 offset1:30
	v_pack_b32_f16 v14, v14, v16
	v_add_f16_e32 v16, v15, v25
	v_fmac_f16_e32 v12, 0x3a79, v11
	v_mul_f16_e32 v11, 0xb8b4, v11
	v_fmac_f16_e32 v37, 0xbb9c, v53
	v_fmac_f16_e32 v45, 0xb8b4, v52
	v_fma_f16 v16, -0.5, v16, v39
	v_add_f16_e32 v19, v17, v12
	v_fmac_f16_e32 v11, 0x3a79, v10
	v_mad_u16 v10, 0x64, v27, v29
	v_fmac_f16_e32 v49, 0x38b4, v54
	v_fmamk_f16 v18, v2, 0xbb9c, v16
	v_fmac_f16_e32 v16, 0x3b9c, v2
	v_fmac_f16_e32 v37, 0xb8b4, v51
	v_and_b32_e32 v10, 0xffff, v10
	v_fmac_f16_e32 v45, 0x34f2, v6
	v_fmac_f16_e32 v18, 0xb8b4, v3
	;; [unrolled: 1-line block ×4, first 2 shown]
	v_lshlrev_b32_e32 v190, 2, v10
	v_add_f16_e32 v10, v24, v26
	v_fmac_f16_e32 v18, 0x34f2, v4
	v_fmac_f16_e32 v37, 0x34f2, v0
	v_mul_f16_e32 v0, 0xba79, v45
	v_fmac_f16_e32 v16, 0x34f2, v4
	v_fmac_f16_e32 v39, -0.5, v10
	v_add_f16_e32 v20, v18, v11
	v_sub_f16_e32 v10, v15, v24
	v_fmac_f16_e32 v0, 0x38b4, v49
	v_mul_f16_e32 v15, 0xbb9c, v58
	v_sub_f16_e32 v1, v1, v5
	v_pack_b32_f16 v19, v19, v20
	s_delay_alu instid0(VALU_DEP_4) | instskip(NEXT) | instid1(VALU_DEP_4)
	v_add_f16_e32 v4, v37, v0
	v_fmac_f16_e32 v15, 0x34f2, v59
	v_sub_f16_e32 v0, v37, v0
	ds_store_2addr_b32 v190, v14, v19 offset1:10
	v_sub_f16_e32 v14, v25, v26
	v_mul_f16_e32 v19, 0xb4f2, v44
	s_delay_alu instid0(VALU_DEP_2) | instskip(SKIP_4) | instid1(VALU_DEP_4)
	v_add_f16_e32 v10, v10, v14
	v_fmamk_f16 v14, v3, 0x3b9c, v39
	v_fmac_f16_e32 v39, 0xbb9c, v3
	v_sub_f16_e32 v3, v13, v7
	v_fmac_f16_e32 v19, 0xbb9c, v47
	v_fmac_f16_e32 v14, 0xb8b4, v2
	s_delay_alu instid0(VALU_DEP_4) | instskip(SKIP_2) | instid1(VALU_DEP_4)
	v_fmac_f16_e32 v39, 0x38b4, v2
	v_mul_f16_e32 v2, 0xba79, v49
	v_pack_b32_f16 v1, v1, v3
	v_fmac_f16_e32 v14, 0x34f2, v10
	s_delay_alu instid0(VALU_DEP_4) | instskip(NEXT) | instid1(VALU_DEP_4)
	v_fmac_f16_e32 v39, 0x34f2, v10
	v_fmac_f16_e32 v2, 0xb8b4, v45
	v_mul_f16_e32 v10, 0x3b9c, v59
	s_delay_alu instid0(VALU_DEP_4) | instskip(NEXT) | instid1(VALU_DEP_3)
	v_add_f16_e32 v21, v14, v15
	v_add_f16_e32 v5, v16, v2
	s_delay_alu instid0(VALU_DEP_3) | instskip(SKIP_1) | instid1(VALU_DEP_3)
	v_fmac_f16_e32 v10, 0x34f2, v58
	v_sub_f16_e32 v2, v16, v2
	v_pack_b32_f16 v4, v4, v5
	s_delay_alu instid0(VALU_DEP_3) | instskip(SKIP_1) | instid1(VALU_DEP_4)
	v_sub_f16_e32 v3, v50, v10
	v_sub_f16_e32 v5, v14, v15
	v_pack_b32_f16 v0, v0, v2
	v_add_f16_e32 v20, v50, v10
	ds_store_2addr_b32 v190, v4, v1 offset0:40 offset1:50
	v_sub_f16_e32 v1, v17, v12
	v_sub_f16_e32 v4, v18, v11
	v_pack_b32_f16 v3, v3, v5
	v_pack_b32_f16 v20, v20, v21
	v_add_f16_e32 v21, v39, v19
	s_delay_alu instid0(VALU_DEP_4) | instskip(NEXT) | instid1(VALU_DEP_2)
	v_pack_b32_f16 v1, v1, v4
	v_pack_b32_f16 v21, v61, v21
	ds_store_2addr_b32 v190, v1, v3 offset0:60 offset1:70
	v_sub_f16_e32 v1, v39, v19
	ds_store_2addr_b32 v190, v20, v21 offset0:20 offset1:30
	v_mul_lo_u16 v20, 0x64, v8
	v_and_b32_e32 v8, 0xffff, v8
	v_pack_b32_f16 v1, v60, v1
	s_delay_alu instid0(VALU_DEP_3) | instskip(NEXT) | instid1(VALU_DEP_3)
	v_sub_nc_u16 v20, v28, v20
	v_mul_u32_u24_e32 v8, 0x258, v8
	ds_store_2addr_b32 v190, v1, v0 offset0:80 offset1:90
	v_add_nc_u16 v0, v38, 0x1e0
	s_waitcnt lgkmcnt(0)
	s_barrier
	buffer_gl0_inv
	v_and_b32_e32 v20, 0xff, v20
	v_lshrrev_b16 v1, 2, v0
	s_delay_alu instid0(VALU_DEP_2) | instskip(NEXT) | instid1(VALU_DEP_2)
	v_add_lshl_u32 v196, v8, v20, 2
	v_and_b32_e32 v1, 0xffff, v1
	s_delay_alu instid0(VALU_DEP_1) | instskip(NEXT) | instid1(VALU_DEP_1)
	v_mul_u32_u24_e32 v1, 0x147b, v1
	v_lshrrev_b32_e32 v9, 17, v1
	s_delay_alu instid0(VALU_DEP_1) | instskip(NEXT) | instid1(VALU_DEP_1)
	v_mul_lo_u16 v1, 0x64, v9
	v_sub_nc_u16 v10, v0, v1
	v_add_nc_u32_e32 v0, 0xffffff9c, v155
	s_delay_alu instid0(VALU_DEP_1) | instskip(NEXT) | instid1(VALU_DEP_1)
	v_cndmask_b32_e32 v48, v0, v155, vcc_lo
	v_mul_i32_i24_e32 v0, 20, v48
	v_mul_hi_i32_i24_e32 v1, 20, v48
	s_delay_alu instid0(VALU_DEP_2) | instskip(SKIP_1) | instid1(VALU_DEP_3)
	v_add_co_u32 v24, vcc_lo, s6, v0
	v_mul_lo_u16 v0, v10, 20
	v_add_co_ci_u32_e32 v25, vcc_lo, s7, v1, vcc_lo
	v_cmp_lt_u16_e32 vcc_lo, 0x63, v38
	s_delay_alu instid0(VALU_DEP_3) | instskip(NEXT) | instid1(VALU_DEP_1)
	v_and_b32_e32 v0, 0xffff, v0
	v_add_co_u32 v11, s4, s6, v0
	s_delay_alu instid0(VALU_DEP_1)
	v_add_co_ci_u32_e64 v12, null, s7, 0, s4
	s_clause 0x1
	global_load_b32 v160, v[11:12], off offset:376
	global_load_b128 v[180:183], v[11:12], off offset:360
	ds_load_2addr_b32 v[29:30], v142 offset0:16 offset1:136
	ds_load_2addr_b32 v[49:50], v192 offset0:64 offset1:184
	;; [unrolled: 1-line block ×6, first 2 shown]
	s_clause 0x1
	global_load_b32 v213, v[24:25], off offset:376
	global_load_b128 v[24:27], v[24:25], off offset:360
	s_waitcnt lgkmcnt(5)
	v_lshrrev_b32_e32 v0, 16, v29
	s_waitcnt lgkmcnt(4)
	v_lshrrev_b32_e32 v1, 16, v49
	s_waitcnt lgkmcnt(3)
	v_lshrrev_b32_e32 v7, 16, v55
	v_lshrrev_b32_e32 v17, 16, v50
	v_lshrrev_b32_e32 v45, 16, v54
	s_waitcnt lgkmcnt(1)
	v_lshrrev_b32_e32 v2, 16, v63
	s_waitcnt lgkmcnt(0)
	v_lshrrev_b32_e32 v4, 16, v71
	s_waitcnt vmcnt(3)
	v_lshrrev_b32_e32 v162, 16, v160
	s_waitcnt vmcnt(2)
	v_lshrrev_b32_e32 v111, 16, v181
	v_lshrrev_b32_e32 v178, 16, v183
	;; [unrolled: 1-line block ×4, first 2 shown]
	v_mul_f16_e64 v3, v63, v162
	v_mul_f16_e32 v11, v29, v111
	v_mul_f16_e64 v39, v49, v178
	s_waitcnt vmcnt(0)
	v_lshrrev_b32_e32 v227, 16, v24
	v_lshrrev_b32_e32 v230, 16, v26
	;; [unrolled: 1-line block ×3, first 2 shown]
	v_fmac_f16_e64 v11, v0, v181
	v_mul_f16_e32 v0, v0, v111
	v_mul_f16_e64 v14, v55, v227
	v_mul_f16_e64 v12, v7, v227
	v_fmac_f16_e64 v39, v1, v183
	v_mul_f16_e64 v1, v1, v178
	v_fma_f16 v37, v29, v181, -v0
	v_fmac_f16_e32 v14, v7, v24
	v_lshrrev_b32_e32 v7, 16, v30
	v_mad_u64_u32 v[28:29], null, v20, 20, s[6:7]
	v_mul_f16_e64 v18, v17, v215
	v_fma_f16 v44, v49, v183, -v1
	s_delay_alu instid0(VALU_DEP_4)
	v_mul_f16_e64 v15, v7, v230
	v_mul_f16_e64 v16, v30, v230
	;; [unrolled: 1-line block ×3, first 2 shown]
	v_fma_f16 v18, v50, v213, -v18
	ds_load_2addr_b32 v[49:50], v110 offset0:48 offset1:168
	v_fma_f16 v15, v30, v26, -v15
	s_clause 0x1
	global_load_b32 v176, v[28:29], off offset:376
	global_load_b128 v[28:31], v[28:29], off offset:360
	v_add_f16_e32 v0, v37, v44
	v_add_f16_e32 v47, v54, v37
	v_mul_f16_e64 v1, v61, v209
	v_lshrrev_b32_e32 v235, 16, v25
	v_fmac_f16_e64 v3, v2, v160
	v_fmac_f16_e32 v54, -0.5, v0
	v_sub_f16_e32 v0, v11, v39
	v_mul_f16_e64 v2, v2, v162
	v_mul_f16_e64 v52, v71, v210
	v_fmac_f16_e32 v16, v7, v26
	v_lshrrev_b16 v7, 2, v36
	v_fmamk_f16 v46, v0, 0x3aee, v54
	v_fmac_f16_e32 v54, 0xbaee, v0
	v_lshrrev_b32_e32 v0, 16, v61
	v_fmac_f16_e64 v52, v4, v180
	v_mul_f16_e64 v4, v4, v210
	v_fma_f16 v2, v63, v160, -v2
	s_waitcnt lgkmcnt(0)
	v_lshrrev_b32_e32 v21, 16, v49
	v_fmac_f16_e64 v1, v0, v182
	v_mul_f16_e64 v0, v0, v209
	v_mul_f16_e64 v22, v49, v235
	v_lshrrev_b32_e32 v23, 16, v50
	v_fma_f16 v53, v71, v180, -v4
	v_and_b32_e32 v7, 0xffff, v7
	v_fma_f16 v0, v61, v182, -v0
	v_fmac_f16_e32 v22, v21, v25
	v_mul_f16_e64 v21, v21, v235
	v_fmac_f16_e64 v19, v17, v213
	v_mul_u32_u24_e32 v7, 0x147b, v7
	v_add_f16_e32 v4, v0, v2
	v_add_f16_e32 v5, v53, v0
	v_fma_f16 v21, v49, v25, -v21
	v_sub_f16_e32 v0, v0, v2
	v_lshrrev_b32_e32 v7, 17, v7
	v_fmac_f16_e32 v53, -0.5, v4
	v_sub_f16_e32 v4, v1, v3
	v_lshrrev_b32_e32 v236, 16, v27
	v_fma_f16 v12, v55, v24, -v12
	v_mul_lo_u16 v17, 0x64, v7
	ds_load_2addr_b32 v[63:64], v134 offset0:48 offset1:168
	v_fmamk_f16 v6, v4, 0x3aee, v53
	v_fmac_f16_e32 v53, 0xbaee, v4
	v_add_f16_e32 v4, v1, v3
	v_add_f16_e32 v1, v52, v1
	v_sub_nc_u16 v17, v36, v17
	ds_load_2addr_b32 v[71:72], v131 offset0:80 offset1:200
	v_add_f16_e32 v2, v5, v2
	v_fmac_f16_e32 v52, -0.5, v4
	v_mul_f16_e32 v5, 0xbaee, v6
	v_mad_u16 v7, 0x258, v7, v17
	v_add_f16_e32 v1, v1, v3
	s_delay_alu instid0(VALU_DEP_4) | instskip(SKIP_3) | instid1(VALU_DEP_4)
	v_fmamk_f16 v4, v0, 0xbaee, v52
	v_fmac_f16_e32 v52, 0x3aee, v0
	v_mul_f16_e32 v0, -0.5, v53
	v_and_b32_e32 v7, 0xffff, v7
	v_mul_f16_e32 v3, 0x3aee, v4
	v_fmac_f16_e32 v5, 0.5, v4
	s_delay_alu instid0(VALU_DEP_4)
	v_fmac_f16_e32 v0, 0x3aee, v52
	s_waitcnt lgkmcnt(1)
	v_lshrrev_b32_e32 v59, 16, v63
	v_lshlrev_b32_e32 v204, 2, v7
	v_mad_u16 v4, 0x258, v9, v10
	v_fmac_f16_e32 v3, 0.5, v6
	v_add_f16_e32 v13, v54, v0
	v_sub_f16_e32 v0, v54, v0
	s_waitcnt lgkmcnt(0)
	v_lshrrev_b32_e32 v73, 16, v71
	v_and_b32_e32 v4, 0xffff, v4
	v_add_f16_e32 v10, v46, v3
	s_delay_alu instid0(VALU_DEP_2) | instskip(SKIP_1) | instid1(VALU_DEP_1)
	v_lshlrev_b32_e32 v189, 2, v4
	v_mul_f16_e32 v4, -0.5, v52
	v_fmac_f16_e32 v4, 0xbaee, v53
	s_waitcnt vmcnt(1)
	v_lshrrev_b32_e32 v107, 16, v176
	s_waitcnt vmcnt(0)
	v_lshrrev_b32_e32 v228, 16, v29
	v_lshrrev_b32_e32 v226, 16, v31
	;; [unrolled: 1-line block ×4, first 2 shown]
	v_mul_f16_e32 v93, v63, v107
	v_mul_f16_e64 v49, v23, v228
	v_mul_f16_e64 v79, v50, v228
	s_delay_alu instid0(VALU_DEP_4) | instskip(NEXT) | instid1(VALU_DEP_4)
	v_mul_f16_e64 v94, v71, v238
	v_fmac_f16_e64 v93, v59, v176
	s_delay_alu instid0(VALU_DEP_4)
	v_fma_f16 v61, v50, v29, -v49
	ds_load_2addr_b32 v[49:50], v145 offset0:96 offset1:216
	v_fmac_f16_e32 v79, v23, v29
	v_add_nc_u16 v23, v38, 0x168
	v_mul_f16_e32 v59, v59, v107
	v_fmac_f16_e32 v94, v73, v28
	v_mul_f16_e64 v73, v73, v238
	v_cndmask_b32_e64 v38, 0, 0x258, vcc_lo
	v_lshrrev_b16 v36, 2, v23
	s_delay_alu instid0(VALU_DEP_2) | instskip(NEXT) | instid1(VALU_DEP_2)
	v_add_lshl_u32 v195, v48, v38, 2
	v_and_b32_e32 v36, 0xffff, v36
	s_delay_alu instid0(VALU_DEP_2) | instskip(NEXT) | instid1(VALU_DEP_2)
	v_add_nc_u32_e32 v201, 0x400, v195
	v_mul_u32_u24_e32 v36, 0x147b, v36
	s_waitcnt lgkmcnt(0)
	v_lshrrev_b32_e32 v51, 16, v49
	v_mul_f16_e64 v57, v49, v236
	s_delay_alu instid0(VALU_DEP_3) | instskip(SKIP_1) | instid1(VALU_DEP_4)
	v_lshrrev_b32_e32 v36, 17, v36
	v_mul_f16_e64 v81, v50, v226
	v_mul_f16_e64 v54, v51, v236
	s_delay_alu instid0(VALU_DEP_4) | instskip(NEXT) | instid1(VALU_DEP_2)
	v_fmac_f16_e32 v57, v51, v27
	v_fma_f16 v56, v49, v27, -v54
	v_lshrrev_b32_e32 v54, 16, v50
	v_mul_lo_u16 v49, 0x64, v36
	s_delay_alu instid0(VALU_DEP_2) | instskip(NEXT) | instid1(VALU_DEP_2)
	v_mul_f16_e64 v55, v54, v226
	v_sub_nc_u16 v23, v23, v49
	v_fmac_f16_e32 v81, v54, v31
	s_delay_alu instid0(VALU_DEP_3)
	v_fma_f16 v80, v50, v31, -v55
	ds_load_2addr_b32 v[49:50], v135 offset1:120
	ds_load_2addr_b32 v[54:55], v139 offset0:128 offset1:248
	v_add_f16_e32 v51, v61, v80
	s_waitcnt lgkmcnt(1)
	v_lshrrev_b32_e32 v82, 16, v50
	v_add_f16_e32 v91, v50, v61
	s_delay_alu instid0(VALU_DEP_3) | instskip(SKIP_4) | instid1(VALU_DEP_3)
	v_fmac_f16_e32 v50, -0.5, v51
	v_sub_f16_e32 v51, v79, v81
	s_waitcnt lgkmcnt(0)
	v_mul_f16_e64 v58, v54, v234
	v_lshrrev_b32_e32 v113, 16, v49
	v_fmamk_f16 v92, v51, 0x3aee, v50
	v_fmac_f16_e32 v50, 0xbaee, v51
	v_lshrrev_b32_e32 v51, 16, v54
	s_delay_alu instid0(VALU_DEP_1) | instskip(SKIP_1) | instid1(VALU_DEP_2)
	v_fmac_f16_e32 v58, v51, v30
	v_mul_f16_e64 v51, v51, v234
	v_add_f16_e32 v100, v94, v58
	s_delay_alu instid0(VALU_DEP_2) | instskip(SKIP_2) | instid1(VALU_DEP_2)
	v_fma_f16 v51, v54, v30, -v51
	v_fma_f16 v54, v63, v176, -v59
	;; [unrolled: 1-line block ×3, first 2 shown]
	v_add_f16_e32 v59, v51, v54
	s_delay_alu instid0(VALU_DEP_2) | instskip(SKIP_1) | instid1(VALU_DEP_3)
	v_add_f16_e32 v71, v63, v51
	v_sub_f16_e32 v51, v51, v54
	v_fmac_f16_e32 v63, -0.5, v59
	v_sub_f16_e32 v59, v58, v93
	s_delay_alu instid0(VALU_DEP_1) | instskip(SKIP_3) | instid1(VALU_DEP_2)
	v_fmamk_f16 v99, v59, 0x3aee, v63
	v_fmac_f16_e32 v63, 0xbaee, v59
	v_add_f16_e32 v59, v58, v93
	v_add_f16_e32 v58, v21, v56
	v_fmac_f16_e32 v94, -0.5, v59
	s_delay_alu instid0(VALU_DEP_2) | instskip(SKIP_2) | instid1(VALU_DEP_4)
	v_fma_f16 v108, -0.5, v58, v49
	v_add_f16_e32 v49, v49, v21
	v_sub_f16_e32 v21, v21, v56
	v_fmamk_f16 v106, v51, 0xbaee, v94
	v_fmac_f16_e32 v94, 0x3aee, v51
	v_mul_f16_e32 v51, -0.5, v63
	v_add_f16_e64 v136, v49, v56
	v_add_f16_e32 v49, v16, v19
	s_delay_alu instid0(VALU_DEP_3) | instskip(NEXT) | instid1(VALU_DEP_1)
	v_fmac_f16_e32 v51, 0x3aee, v94
	v_add_f16_e32 v109, v50, v51
	v_sub_f16_e32 v112, v50, v51
	v_add_f16_e32 v51, v22, v57
	v_add_f16_e32 v50, v113, v22
	v_sub_f16_e32 v22, v22, v57
	s_delay_alu instid0(VALU_DEP_3) | instskip(SKIP_1) | instid1(VALU_DEP_4)
	v_fmac_f16_e32 v113, -0.5, v51
	v_add_f16_e32 v51, v15, v18
	v_add_f16_e64 v132, v50, v57
	v_add_f16_e32 v50, v14, v16
	v_fmac_f16_e32 v14, -0.5, v49
	v_add_f16_e32 v49, v12, v15
	v_sub_f16_e32 v15, v15, v18
	v_fmac_f16_e32 v12, -0.5, v51
	v_sub_f16_e32 v16, v16, v19
	v_add_f16_e32 v19, v50, v19
	v_add_f16_e32 v18, v49, v18
	v_fmamk_f16 v49, v15, 0xbaee, v14
	v_fma_f16 v173, 0x3aee, v22, v108
	v_fmamk_f16 v50, v16, 0x3aee, v12
	v_add_f16_e64 v48, v132, v19
	v_add_f16_e64 v38, v136, v18
	v_mul_f16_e64 v140, 0x3aee, v49
	v_fma_f16 v175, 0xbaee, v21, v113
	v_mul_f16_e64 v156, 0xbaee, v50
	v_fmac_f16_e32 v12, 0xbaee, v16
	v_pack_b32_f16 v38, v38, v48
	v_fmac_f16_e64 v140, 0.5, v50
	v_fmac_f16_e32 v14, 0x3aee, v15
	v_fmac_f16_e64 v156, 0.5, v49
	v_mul_f16_e32 v15, -0.5, v12
	v_fmac_f16_e32 v108, 0xbaee, v22
	v_add_f16_e64 v48, v173, v140
	v_fmac_f16_e32 v113, 0x3aee, v21
	v_add_f16_e64 v49, v175, v156
	v_fmac_f16_e32 v15, 0x3aee, v14
	v_mul_f16_e32 v14, -0.5, v14
	v_sub_f16_e64 v16, v132, v19
	v_mul_f16_e32 v21, 0xbaee, v99
	v_pack_b32_f16 v177, v48, v49
	v_mul_lo_u16 v48, v23, 20
	v_mul_lo_u16 v49, v17, 20
	v_fmac_f16_e32 v14, 0xbaee, v12
	v_sub_f16_e64 v12, v136, v18
	v_add_f16_e32 v18, v108, v15
	v_and_b32_e32 v48, 0xffff, v48
	v_and_b32_e32 v50, 0xffff, v49
	v_add_f16_e32 v19, v113, v14
	v_pack_b32_f16 v12, v12, v16
	v_add_nc_u32_e32 v16, 0x200, v195
	v_add_co_u32 v48, s4, s6, v48
	s_delay_alu instid0(VALU_DEP_1) | instskip(SKIP_1) | instid1(VALU_DEP_1)
	v_add_co_ci_u32_e64 v49, null, s7, 0, s4
	v_add_co_u32 v50, s4, s6, v50
	v_add_co_ci_u32_e64 v51, null, s7, 0, s4
	s_clause 0x3
	global_load_b32 v174, v[48:49], off offset:376
	global_load_b32 v188, v[50:51], off offset:376
	global_load_b128 v[56:59], v[50:51], off offset:360
	global_load_b128 v[48:51], v[48:49], off offset:360
	v_pack_b32_f16 v18, v18, v19
	ds_load_2addr_b32 v[73:74], v154 offset0:112 offset1:232
	ds_load_2addr_b32 v[75:76], v187 offset0:32 offset1:152
	;; [unrolled: 1-line block ×3, first 2 shown]
	s_waitcnt vmcnt(0) lgkmcnt(0)
	s_barrier
	buffer_gl0_inv
	scratch_store_b32 off, v16, off offset:216 ; 4-byte Folded Spill
	ds_store_2addr_b32 v16, v18, v12 offset0:72 offset1:172
	v_sub_f16_e64 v12, v173, v140
	v_sub_f16_e32 v15, v108, v15
	v_sub_f16_e64 v16, v175, v156
	v_sub_f16_e32 v14, v113, v14
	v_add_f16_e32 v18, v100, v93
	v_mul_f16_e32 v19, 0x3aee, v106
	v_fmac_f16_e32 v21, 0.5, v106
	v_pack_b32_f16 v12, v12, v16
	v_pack_b32_f16 v14, v15, v14
	v_add_f16_e32 v16, v71, v54
	v_sub_f16_e32 v15, v61, v80
	v_fmac_f16_e32 v19, 0.5, v99
	ds_store_2addr_b32 v195, v38, v177 offset1:100
	ds_store_2addr_b32 v201, v12, v14 offset0:144 offset1:244
	v_add_f16_e32 v12, v82, v79
	v_add_f16_e32 v14, v79, v81
	;; [unrolled: 1-line block ×3, first 2 shown]
	v_lshrrev_b32_e32 v54, 16, v76
	v_lshrrev_b32_e32 v71, 16, v77
	v_add_f16_e32 v12, v12, v81
	v_fmac_f16_e32 v82, -0.5, v14
	v_add_f16_e32 v14, v91, v80
	s_delay_alu instid0(VALU_DEP_3) | instskip(SKIP_1) | instid1(VALU_DEP_3)
	v_add_f16_e32 v20, v12, v18
	v_sub_f16_e32 v12, v12, v18
	v_add_f16_e32 v8, v14, v16
	v_sub_f16_e32 v14, v14, v16
	s_delay_alu instid0(VALU_DEP_2) | instskip(SKIP_2) | instid1(VALU_DEP_4)
	v_pack_b32_f16 v8, v8, v20
	v_fmamk_f16 v20, v15, 0xbaee, v82
	v_fmac_f16_e32 v82, 0x3aee, v15
	v_pack_b32_f16 v12, v14, v12
	v_add_nc_u32_e32 v14, 0x200, v196
	s_delay_alu instid0(VALU_DEP_4)
	v_add_f16_e32 v38, v20, v21
	scratch_store_b32 off, v14, off offset:208 ; 4-byte Folded Spill
	v_pack_b32_f16 v22, v22, v38
	ds_store_2addr_b32 v196, v8, v22 offset1:100
	v_mul_f16_e32 v8, -0.5, v94
	v_lshrrev_b32_e32 v22, 16, v75
	s_delay_alu instid0(VALU_DEP_2) | instskip(SKIP_1) | instid1(VALU_DEP_2)
	v_fmac_f16_e32 v8, 0xbaee, v63
	v_lshrrev_b32_e32 v63, 16, v60
	v_add_f16_e32 v15, v82, v8
	v_sub_f16_e32 v8, v82, v8
	s_delay_alu instid0(VALU_DEP_2) | instskip(NEXT) | instid1(VALU_DEP_2)
	v_pack_b32_f16 v15, v109, v15
	v_pack_b32_f16 v8, v112, v8
	ds_store_2addr_b32 v14, v15, v12 offset0:72 offset1:172
	v_sub_f16_e32 v12, v92, v19
	v_sub_f16_e32 v14, v20, v21
	v_lshrrev_b32_e32 v15, 16, v55
	v_lshrrev_b32_e32 v19, 16, v64
	s_delay_alu instid0(VALU_DEP_3)
	v_pack_b32_f16 v12, v12, v14
	v_add_nc_u32_e32 v14, 0x400, v196
	ds_store_2addr_b32 v14, v12, v8 offset0:144 offset1:244
	v_lshrrev_b32_e32 v8, 16, v72
	scratch_store_b32 off, v14, off offset:212 ; 4-byte Folded Spill
	v_lshrrev_b32_e32 v106, 16, v174
	v_lshrrev_b32_e32 v199, 16, v188
	;; [unrolled: 1-line block ×6, first 2 shown]
	v_mul_f16_e64 v20, v19, v199
	v_mul_f16_e64 v38, v75, v197
	;; [unrolled: 1-line block ×5, first 2 shown]
	v_lshrrev_b32_e32 v200, 16, v59
	v_fmac_f16_e32 v38, v22, v57
	v_mul_f16_e64 v22, v22, v197
	v_fma_f16 v12, v72, v56, -v12
	v_fma_f16 v16, v55, v58, -v16
	v_mul_f16_e64 v18, v55, v186
	v_fma_f16 v20, v64, v188, -v20
	v_mul_f16_e64 v21, v64, v199
	v_fmac_f16_e32 v14, v8, v56
	v_lshrrev_b32_e32 v8, 16, v70
	v_lshrrev_b32_e32 v64, 16, v48
	v_fma_f16 v22, v75, v57, -v22
	v_mul_f16_e64 v55, v54, v136
	v_mul_f16_e64 v72, v77, v200
	v_lshrrev_b32_e32 v75, 16, v78
	v_lshrrev_b32_e32 v140, 16, v51
	v_fmac_f16_e32 v18, v15, v58
	v_mul_f16_e32 v15, v8, v64
	v_fma_f16 v55, v76, v49, -v55
	v_mul_f16_e64 v61, v76, v136
	v_lshrrev_b32_e32 v108, 16, v50
	v_fmac_f16_e32 v72, v71, v59
	v_mul_f16_e64 v71, v71, v200
	v_mul_f16_e64 v76, v75, v140
	v_fmac_f16_e64 v21, v19, v188
	v_fma_f16 v15, v70, v48, -v15
	v_mul_f16_e32 v19, v70, v64
	v_mul_f16_e32 v70, v63, v108
	v_fma_f16 v71, v77, v59, -v71
	v_fma_f16 v76, v78, v51, -v76
	v_mul_f16_e64 v77, v78, v140
	v_lshrrev_b32_e32 v78, 16, v62
	v_fma_f16 v70, v60, v50, -v70
	v_mul_f16_e32 v60, v60, v108
	v_fmac_f16_e32 v19, v8, v48
	v_fmac_f16_e32 v61, v54, v49
	v_mul_f16_e32 v79, v78, v106
	v_fmac_f16_e32 v77, v75, v51
	v_add_f16_e32 v8, v55, v76
	v_fmac_f16_e32 v60, v63, v50
	v_lshrrev_b32_e32 v54, 16, v74
	v_fma_f16 v79, v62, v174, -v79
	v_mul_f16_e32 v62, v62, v106
	v_add_f16_e32 v63, v74, v55
	v_fmac_f16_e32 v74, -0.5, v8
	v_sub_f16_e32 v8, v61, v77
	v_add_f16_e32 v81, v22, v71
	v_fmac_f16_e64 v62, v78, v174
	v_add_f16_e32 v78, v15, v70
	v_add_f16_e32 v92, v38, v72
	v_fmamk_f16 v75, v8, 0x3aee, v74
	v_fmac_f16_e32 v74, 0xbaee, v8
	v_add_f16_e32 v8, v70, v79
	v_fma_f16 v81, -0.5, v81, v73
	s_delay_alu instid0(VALU_DEP_2) | instskip(SKIP_1) | instid1(VALU_DEP_1)
	v_fmac_f16_e32 v15, -0.5, v8
	v_sub_f16_e32 v8, v60, v62
	v_fmamk_f16 v80, v8, 0x3aee, v15
	v_fmac_f16_e32 v15, 0xbaee, v8
	v_add_f16_e32 v8, v60, v62
	v_add_f16_e32 v60, v19, v60
	s_delay_alu instid0(VALU_DEP_2) | instskip(SKIP_1) | instid1(VALU_DEP_1)
	v_fmac_f16_e32 v19, -0.5, v8
	v_sub_f16_e32 v8, v70, v79
	v_fmamk_f16 v70, v8, 0xbaee, v19
	v_fmac_f16_e32 v19, 0x3aee, v8
	v_mul_f16_e32 v8, -0.5, v15
	s_delay_alu instid0(VALU_DEP_1) | instskip(NEXT) | instid1(VALU_DEP_1)
	v_fmac_f16_e32 v8, 0x3aee, v19
	v_add_f16_e32 v82, v74, v8
	v_sub_f16_e32 v8, v74, v8
	v_lshrrev_b32_e32 v74, 16, v73
	v_add_f16_e32 v73, v73, v22
	v_sub_f16_e32 v22, v22, v71
	s_delay_alu instid0(VALU_DEP_3) | instskip(NEXT) | instid1(VALU_DEP_3)
	v_add_f16_e32 v91, v74, v38
	v_add_f16_e32 v73, v73, v71
	;; [unrolled: 1-line block ×3, first 2 shown]
	v_sub_f16_e32 v38, v38, v72
	v_fmac_f16_e32 v74, -0.5, v92
	v_add_f16_e32 v72, v91, v72
	v_add_f16_e32 v91, v14, v18
	v_fmac_f16_e32 v14, -0.5, v71
	v_add_f16_e32 v71, v12, v16
	v_add_f16_e32 v92, v16, v20
	v_sub_f16_e32 v16, v16, v20
	v_sub_f16_e32 v18, v18, v21
	v_add_f16_e32 v21, v91, v21
	v_add_f16_e32 v20, v71, v20
	v_fmac_f16_e32 v12, -0.5, v92
	v_fmamk_f16 v71, v16, 0xbaee, v14
	v_fmamk_f16 v93, v22, 0xbaee, v74
	v_fmac_f16_e32 v14, 0x3aee, v16
	v_add_f16_e32 v17, v73, v20
	v_fmamk_f16 v91, v18, 0x3aee, v12
	v_mul_f16_e32 v92, 0x3aee, v71
	v_fmac_f16_e32 v12, 0xbaee, v18
	v_fmac_f16_e32 v74, 0x3aee, v22
	v_sub_f16_e32 v16, v72, v21
	s_delay_alu instid0(VALU_DEP_4) | instskip(SKIP_2) | instid1(VALU_DEP_2)
	v_fmac_f16_e32 v92, 0.5, v91
	v_mul_f16_e32 v91, 0xbaee, v91
	v_mul_f16_e32 v7, -0.5, v12
	v_fmac_f16_e32 v91, 0.5, v71
	v_add_f16_e32 v71, v72, v21
	s_delay_alu instid0(VALU_DEP_3)
	v_fmac_f16_e32 v7, 0x3aee, v14
	v_mul_f16_e32 v14, -0.5, v14
	v_mad_u16 v21, 0x258, v36, v23
	v_add_f16_e32 v99, v93, v91
	v_pack_b32_f16 v17, v17, v71
	v_fmamk_f16 v71, v38, 0x3aee, v81
	v_fmac_f16_e32 v81, 0xbaee, v38
	v_fmac_f16_e32 v14, 0xbaee, v12
	v_sub_f16_e32 v12, v73, v20
	v_and_b32_e32 v21, 0xffff, v21
	v_add_f16_e32 v94, v71, v92
	v_mul_f16_e32 v20, 0xbaee, v80
	v_add_f16_e32 v18, v74, v14
	v_pack_b32_f16 v12, v12, v16
	v_add_nc_u32_e32 v16, 0x200, v204
	v_pack_b32_f16 v94, v94, v99
	v_sub_f16_e32 v14, v74, v14
	v_lshlrev_b32_e32 v193, 2, v21
	v_fmac_f16_e32 v20, 0.5, v70
	scratch_store_b32 off, v16, off offset:220 ; 4-byte Folded Spill
	ds_store_2addr_b32 v204, v17, v94 offset1:100
	v_add_f16_e32 v17, v81, v7
	v_sub_f16_e32 v7, v81, v7
	s_delay_alu instid0(VALU_DEP_2) | instskip(NEXT) | instid1(VALU_DEP_2)
	v_pack_b32_f16 v17, v17, v18
	v_pack_b32_f16 v7, v7, v14
	v_add_nc_u32_e32 v14, 0x400, v204
	v_mul_f16_e32 v18, 0x3aee, v70
	ds_store_2addr_b32 v16, v17, v12 offset0:72 offset1:172
	v_sub_f16_e32 v12, v71, v92
	v_sub_f16_e32 v16, v93, v91
	v_add_f16_e32 v17, v60, v62
	v_fmac_f16_e32 v18, 0.5, v80
	s_delay_alu instid0(VALU_DEP_3) | instskip(SKIP_1) | instid1(VALU_DEP_3)
	v_pack_b32_f16 v12, v12, v16
	v_add_f16_e32 v16, v78, v79
	v_add_f16_e32 v36, v75, v18
	ds_store_2addr_b32 v14, v12, v7 offset0:144 offset1:244
	v_add_f16_e32 v7, v54, v61
	v_add_f16_e32 v12, v61, v77
	s_delay_alu instid0(VALU_DEP_2) | instskip(NEXT) | instid1(VALU_DEP_2)
	v_add_f16_e32 v7, v7, v77
	v_fmac_f16_e32 v54, -0.5, v12
	v_add_f16_e32 v12, v63, v76
	s_delay_alu instid0(VALU_DEP_3) | instskip(SKIP_1) | instid1(VALU_DEP_3)
	v_add_f16_e32 v23, v7, v17
	v_sub_f16_e32 v7, v7, v17
	v_add_f16_e32 v22, v12, v16
	v_sub_f16_e32 v12, v12, v16
	s_delay_alu instid0(VALU_DEP_2) | instskip(NEXT) | instid1(VALU_DEP_2)
	v_pack_b32_f16 v22, v22, v23
	v_pack_b32_f16 v7, v12, v7
	v_add_nc_u32_e32 v12, 0x200, v193
	scratch_store_b32 off, v14, off offset:204 ; 4-byte Folded Spill
	v_sub_f16_e32 v14, v55, v76
	scratch_store_b32 off, v12, off offset:196 ; 4-byte Folded Spill
	v_fmamk_f16 v23, v14, 0xbaee, v54
	v_fmac_f16_e32 v54, 0x3aee, v14
	v_mul_f16_e32 v14, -0.5, v19
	s_delay_alu instid0(VALU_DEP_3) | instskip(NEXT) | instid1(VALU_DEP_2)
	v_add_f16_e32 v38, v23, v20
	v_fmac_f16_e32 v14, 0xbaee, v15
	s_delay_alu instid0(VALU_DEP_2) | instskip(NEXT) | instid1(VALU_DEP_2)
	v_pack_b32_f16 v36, v36, v38
	v_add_f16_e32 v15, v54, v14
	v_sub_f16_e32 v14, v54, v14
	ds_store_2addr_b32 v193, v22, v36 offset1:100
	v_pack_b32_f16 v15, v82, v15
	v_pack_b32_f16 v8, v8, v14
	ds_store_2addr_b32 v12, v15, v7 offset0:72 offset1:172
	v_sub_f16_e32 v7, v75, v18
	v_sub_f16_e32 v12, v23, v20
	s_delay_alu instid0(VALU_DEP_1)
	v_pack_b32_f16 v7, v7, v12
	v_add_nc_u32_e32 v12, 0x400, v193
	ds_store_2addr_b32 v12, v7, v8 offset0:144 offset1:244
	v_add_f16_e32 v7, v45, v11
	v_add_f16_e32 v8, v11, v39
	v_sub_f16_e32 v11, v37, v44
	v_mad_u64_u32 v[36:37], null, v155, 20, s[6:7]
	s_delay_alu instid0(VALU_DEP_4) | instskip(NEXT) | instid1(VALU_DEP_4)
	v_add_f16_e32 v7, v7, v39
	v_fmac_f16_e32 v45, -0.5, v8
	v_add_f16_e32 v8, v47, v44
	s_delay_alu instid0(VALU_DEP_3) | instskip(SKIP_1) | instid1(VALU_DEP_3)
	v_add_f16_e32 v9, v7, v1
	v_sub_f16_e32 v1, v7, v1
	v_add_f16_e32 v6, v8, v2
	v_sub_f16_e32 v2, v8, v2
	v_add_co_u32 v8, vcc_lo, 0x2580, v36
	s_delay_alu instid0(VALU_DEP_3) | instskip(SKIP_1) | instid1(VALU_DEP_4)
	v_pack_b32_f16 v6, v6, v9
	v_fmamk_f16 v9, v11, 0xbaee, v45
	v_pack_b32_f16 v1, v2, v1
	v_add_nc_u32_e32 v2, 0x200, v189
	scratch_store_b32 off, v12, off offset:200 ; 4-byte Folded Spill
	v_fmac_f16_e32 v45, 0x3aee, v11
	v_add_f16_e32 v12, v9, v5
	scratch_store_b32 off, v2, off offset:188 ; 4-byte Folded Spill
	v_pack_b32_f16 v10, v10, v12
	ds_store_2addr_b32 v189, v6, v10 offset1:100
	v_add_f16_e32 v6, v45, v4
	s_delay_alu instid0(VALU_DEP_1)
	v_pack_b32_f16 v6, v13, v6
	ds_store_2addr_b32 v2, v6, v1 offset0:72 offset1:172
	v_sub_f16_e32 v1, v46, v3
	v_sub_f16_e32 v2, v9, v5
	;; [unrolled: 1-line block ×3, first 2 shown]
	v_add_co_ci_u32_e32 v9, vcc_lo, 0, v37, vcc_lo
	v_add_co_u32 v60, vcc_lo, 0x960, v36
	s_delay_alu instid0(VALU_DEP_4) | instskip(NEXT) | instid1(VALU_DEP_4)
	v_pack_b32_f16 v1, v1, v2
	v_pack_b32_f16 v0, v0, v3
	v_add_nc_u32_e32 v2, 0x400, v189
	v_add_co_ci_u32_e32 v61, vcc_lo, 0, v37, vcc_lo
	v_add_co_u32 v62, vcc_lo, 0x12c0, v36
	scratch_store_b32 off, v2, off offset:192 ; 4-byte Folded Spill
	ds_store_2addr_b32 v2, v1, v0 offset0:144 offset1:244
	s_waitcnt lgkmcnt(0)
	s_waitcnt_vscnt null, 0x0
	s_barrier
	buffer_gl0_inv
	s_clause 0x1
	global_load_b32 v156, v[8:9], off offset:2376
	global_load_b128 v[91:94], v[8:9], off offset:2360
	ds_load_2addr_b32 v[38:39], v142 offset0:16 offset1:136
	ds_load_2addr_b32 v[52:53], v192 offset0:64 offset1:184
	;; [unrolled: 1-line block ×6, first 2 shown]
	s_clause 0x1
	global_load_b32 v211, v[36:37], off offset:2376
	global_load_b128 v[44:47], v[36:37], off offset:2360
	v_add_co_ci_u32_e32 v63, vcc_lo, 0, v37, vcc_lo
	s_waitcnt lgkmcnt(5)
	v_lshrrev_b32_e32 v0, 16, v38
	s_waitcnt lgkmcnt(4)
	v_lshrrev_b32_e32 v1, 16, v52
	;; [unrolled: 2-line block ×3, first 2 shown]
	v_lshrrev_b32_e32 v18, 16, v53
	s_waitcnt lgkmcnt(1)
	v_lshrrev_b32_e32 v2, 16, v77
	s_waitcnt lgkmcnt(0)
	v_lshrrev_b32_e32 v3, 16, v79
	v_lshrrev_b32_e32 v125, 16, v74
	;; [unrolled: 1-line block ×3, first 2 shown]
	s_waitcnt vmcnt(3)
	v_lshrrev_b32_e32 v194, 16, v156
	s_waitcnt vmcnt(2)
	v_lshrrev_b32_e32 v112, 16, v92
	v_lshrrev_b32_e32 v177, 16, v94
	;; [unrolled: 1-line block ×4, first 2 shown]
	v_mul_f16_e64 v7, v77, v194
	v_mul_f16_e32 v70, v38, v112
	v_mul_f16_e64 v72, v52, v177
	s_waitcnt vmcnt(0)
	v_lshrrev_b32_e32 v246, 16, v44
	v_mul_f16_e64 v8, v79, v212
	v_fmac_f16_e64 v7, v2, v156
	v_fmac_f16_e32 v70, v0, v92
	v_mul_f16_e32 v0, v0, v112
	v_fmac_f16_e32 v72, v1, v94
	v_mul_f16_e64 v1, v1, v177
	v_mul_f16_e64 v2, v2, v194
	v_fmac_f16_e32 v8, v3, v91
	v_fma_f16 v71, v38, v92, -v0
	v_mul_f16_e64 v3, v3, v212
	v_fma_f16 v73, v52, v94, -v1
	v_mul_f16_e64 v1, v75, v208
	v_fma_f16 v9, v77, v156, -v2
	v_add_f16_e32 v5, v54, v71
	v_fma_f16 v10, v79, v91, -v3
	v_add_f16_e32 v0, v71, v73
	v_lshrrev_b32_e32 v247, 16, v46
	v_lshrrev_b32_e32 v214, 16, v211
	v_add_co_u32 v79, vcc_lo, 0x1c20, v36
	s_delay_alu instid0(VALU_DEP_4) | instskip(SKIP_1) | instid1(VALU_DEP_4)
	v_fmac_f16_e32 v54, -0.5, v0
	v_sub_f16_e32 v0, v70, v72
	v_mul_f16_e64 v19, v18, v214
	v_add_co_ci_u32_e32 v80, vcc_lo, 0, v37, vcc_lo
	v_mul_f16_e64 v17, v39, v247
	s_delay_alu instid0(VALU_DEP_4)
	v_fmamk_f16 v6, v0, 0x3aee, v54
	v_fmac_f16_e32 v54, 0xbaee, v0
	v_lshrrev_b32_e32 v0, 16, v75
	v_fma_f16 v19, v53, v211, -v19
	v_mul_f16_e64 v20, v53, v214
	ds_load_2addr_b32 v[52:53], v110 offset0:48 offset1:168
	v_lshrrev_b32_e32 v250, 16, v45
	v_fmac_f16_e32 v1, v0, v93
	v_mul_f16_e64 v0, v0, v208
	v_lshrrev_b32_e32 v251, 16, v47
	v_fmac_f16_e64 v20, v18, v211
	v_add_f16_e32 v5, v5, v73
	v_add_f16_e32 v13, v8, v1
	v_fma_f16 v0, v75, v93, -v0
	s_delay_alu instid0(VALU_DEP_1) | instskip(SKIP_2) | instid1(VALU_DEP_3)
	v_add_f16_e32 v2, v0, v9
	v_add_f16_e32 v11, v10, v0
	v_sub_f16_e32 v0, v0, v9
	v_fmac_f16_e32 v10, -0.5, v2
	v_sub_f16_e32 v2, v1, v7
	s_waitcnt lgkmcnt(0)
	v_lshrrev_b32_e32 v21, 16, v52
	v_mul_f16_e64 v22, v52, v250
	v_lshrrev_b32_e32 v23, 16, v53
	v_add_f16_e32 v9, v11, v9
	v_fmamk_f16 v12, v2, 0x3aee, v10
	v_fmac_f16_e32 v10, 0xbaee, v2
	v_add_f16_e32 v2, v1, v7
	v_lshrrev_b32_e32 v1, 16, v55
	v_fmac_f16_e32 v22, v21, v45
	v_mul_f16_e64 v21, v21, v250
	v_add_f16_e32 v7, v13, v7
	v_fmac_f16_e32 v8, -0.5, v2
	v_mul_f16_e64 v2, v1, v246
	s_delay_alu instid0(VALU_DEP_4) | instskip(NEXT) | instid1(VALU_DEP_3)
	v_fma_f16 v21, v52, v45, -v21
	v_fmamk_f16 v14, v0, 0xbaee, v8
	v_fmac_f16_e32 v8, 0x3aee, v0
	v_mul_f16_e32 v0, -0.5, v10
	v_fma_f16 v2, v55, v44, -v2
	s_delay_alu instid0(VALU_DEP_4) | instskip(NEXT) | instid1(VALU_DEP_3)
	v_mul_f16_e32 v11, 0x3aee, v14
	v_fmac_f16_e32 v0, 0x3aee, v8
	s_delay_alu instid0(VALU_DEP_2) | instskip(SKIP_1) | instid1(VALU_DEP_3)
	v_fmac_f16_e32 v11, 0.5, v12
	v_mul_f16_e32 v12, 0xbaee, v12
	v_add_f16_e32 v15, v54, v0
	v_sub_f16_e32 v16, v54, v0
	v_mul_f16_e64 v0, v55, v246
	s_delay_alu instid0(VALU_DEP_4) | instskip(NEXT) | instid1(VALU_DEP_2)
	v_fmac_f16_e32 v12, 0.5, v14
	v_fmac_f16_e32 v0, v1, v44
	v_lshrrev_b32_e32 v1, 16, v39
	s_delay_alu instid0(VALU_DEP_1) | instskip(SKIP_1) | instid1(VALU_DEP_2)
	v_mul_f16_e64 v3, v1, v247
	v_fmac_f16_e32 v17, v1, v46
	v_fma_f16 v3, v39, v46, -v3
	s_clause 0x1
	global_load_b32 v216, v[60:61], off offset:2376
	global_load_b128 v[36:39], v[60:61], off offset:2360
	ds_load_2addr_b32 v[184:185], v134 offset0:48 offset1:168
	ds_load_2addr_b32 v[252:253], v131 offset0:80 offset1:200
	s_waitcnt lgkmcnt(1)
	v_lshrrev_b32_e32 v82, 16, v184
	s_waitcnt lgkmcnt(0)
	v_lshrrev_b32_e32 v100, 16, v252
	s_waitcnt vmcnt(1)
	v_lshrrev_b32_e32 v218, 16, v216
	s_waitcnt vmcnt(0)
	v_lshrrev_b32_e32 v242, 16, v37
	v_lshrrev_b32_e32 v240, 16, v39
	;; [unrolled: 1-line block ×4, first 2 shown]
	v_mul_f16_e64 v99, v184, v218
	v_mul_f16_e64 v52, v23, v242
	;; [unrolled: 1-line block ×3, first 2 shown]
	s_delay_alu instid0(VALU_DEP_4) | instskip(NEXT) | instid1(VALU_DEP_4)
	v_mul_f16_e64 v150, v252, v249
	v_fmac_f16_e64 v99, v82, v216
	s_delay_alu instid0(VALU_DEP_4)
	v_fma_f16 v75, v53, v37, -v52
	ds_load_2addr_b32 v[52:53], v145 offset0:96 offset1:216
	v_fmac_f16_e32 v77, v23, v37
	v_mul_f16_e64 v82, v82, v218
	v_fmac_f16_e64 v150, v100, v36
	v_mul_f16_e64 v100, v100, v249
	s_waitcnt lgkmcnt(0)
	v_lshrrev_b32_e32 v54, 16, v52
	v_mul_f16_e64 v149, v53, v240
	s_delay_alu instid0(VALU_DEP_2) | instskip(NEXT) | instid1(VALU_DEP_1)
	v_mul_f16_e64 v55, v54, v251
	v_fma_f16 v60, v52, v47, -v55
	v_lshrrev_b32_e32 v55, 16, v53
	s_delay_alu instid0(VALU_DEP_1) | instskip(SKIP_1) | instid1(VALU_DEP_2)
	v_mul_f16_e64 v61, v55, v240
	v_fmac_f16_e64 v149, v55, v39
	v_fma_f16 v143, v53, v39, -v61
	v_mul_f16_e64 v61, v52, v251
	ds_load_2addr_b32 v[52:53], v135 offset1:120
	v_add_f16_e64 v1, v75, v143
	v_fmac_f16_e32 v61, v54, v47
	ds_load_2addr_b32 v[54:55], v139 offset0:128 offset1:248
	s_waitcnt lgkmcnt(1)
	v_lshrrev_b32_e32 v18, 16, v53
	v_add_f16_e32 v23, v53, v75
	v_fmac_f16_e32 v53, -0.5, v1
	v_sub_f16_e64 v1, v77, v149
	s_waitcnt lgkmcnt(0)
	v_mul_f16_e64 v81, v54, v243
	s_delay_alu instid0(VALU_DEP_2) | instskip(SKIP_2) | instid1(VALU_DEP_1)
	v_fma_f16 v146, 0x3aee, v1, v53
	v_fmac_f16_e32 v53, 0xbaee, v1
	v_lshrrev_b32_e32 v1, 16, v54
	v_fmac_f16_e32 v81, v1, v38
	v_mul_f16_e64 v1, v1, v243
	s_delay_alu instid0(VALU_DEP_1) | instskip(SKIP_2) | instid1(VALU_DEP_2)
	v_fma_f16 v1, v54, v38, -v1
	v_fma_f16 v54, v184, v216, -v82
	;; [unrolled: 1-line block ×3, first 2 shown]
	v_add_f16_e32 v82, v1, v54
	s_delay_alu instid0(VALU_DEP_2) | instskip(SKIP_1) | instid1(VALU_DEP_3)
	v_add_f16_e64 v100, v184, v1
	v_sub_f16_e32 v1, v1, v54
	v_fmac_f16_e64 v184, -0.5, v82
	v_sub_f16_e32 v82, v81, v99
	s_delay_alu instid0(VALU_DEP_4) | instskip(SKIP_1) | instid1(VALU_DEP_3)
	v_add_f16_e32 v120, v100, v54
	v_lshrrev_b32_e32 v100, 16, v185
	v_fma_f16 v116, 0x3aee, v82, v184
	v_fmac_f16_e64 v184, 0xbaee, v82
	v_add_f16_e32 v82, v81, v99
	v_add_f16_e64 v81, v150, v81
	s_delay_alu instid0(VALU_DEP_2) | instskip(SKIP_1) | instid1(VALU_DEP_3)
	v_fmac_f16_e64 v150, -0.5, v82
	v_add_f16_e32 v82, v21, v60
	v_add_f16_e32 v121, v81, v99
	s_delay_alu instid0(VALU_DEP_3) | instskip(SKIP_3) | instid1(VALU_DEP_2)
	v_fma_f16 v117, 0xbaee, v1, v150
	v_fmac_f16_e64 v150, 0x3aee, v1
	v_mul_f16_e64 v1, -0.5, v184
	v_fma_f16 v82, -0.5, v82, v52
	v_fmac_f16_e64 v1, 0x3aee, v150
	s_delay_alu instid0(VALU_DEP_1)
	v_add_f16_e32 v118, v53, v1
	v_sub_f16_e32 v119, v53, v1
	v_lshrrev_b32_e32 v1, 16, v52
	v_add_f16_e32 v53, v22, v61
	v_add_f16_e32 v52, v52, v21
	v_sub_f16_e32 v21, v21, v60
	s_delay_alu instid0(VALU_DEP_4) | instskip(NEXT) | instid1(VALU_DEP_4)
	v_add_f16_e32 v109, v1, v22
	v_fmac_f16_e32 v1, -0.5, v53
	s_delay_alu instid0(VALU_DEP_4) | instskip(SKIP_1) | instid1(VALU_DEP_3)
	v_add_f16_e32 v52, v52, v60
	v_sub_f16_e32 v22, v22, v61
	v_fmamk_f16 v60, v21, 0xbaee, v1
	v_fmac_f16_e32 v1, 0x3aee, v21
	v_add_f16_e32 v21, v3, v19
	s_delay_alu instid0(VALU_DEP_4)
	v_fmamk_f16 v53, v22, 0x3aee, v82
	v_fmac_f16_e32 v82, 0xbaee, v22
	v_add_f16_e32 v22, v109, v61
	v_add_f16_e32 v61, v2, v3
	v_fmac_f16_e32 v2, -0.5, v21
	v_add_f16_e32 v21, v17, v20
	v_add_f16_e32 v109, v0, v17
	v_sub_f16_e32 v3, v3, v19
	v_sub_f16_e32 v17, v17, v20
	s_delay_alu instid0(VALU_DEP_4) | instskip(SKIP_1) | instid1(VALU_DEP_3)
	v_fmac_f16_e32 v0, -0.5, v21
	v_add_f16_e32 v21, v61, v19
	v_fmamk_f16 v19, v17, 0x3aee, v2
	v_fmac_f16_e32 v2, 0xbaee, v17
	v_add_f16_e32 v17, v109, v20
	v_fmamk_f16 v20, v3, 0xbaee, v0
	v_fmac_f16_e32 v0, 0x3aee, v3
	v_lshrrev_b32_e32 v109, 16, v78
	s_delay_alu instid0(VALU_DEP_4) | instskip(NEXT) | instid1(VALU_DEP_4)
	v_add_f16_e32 v61, v22, v17
	v_mul_f16_e32 v3, 0x3aee, v20
	v_sub_f16_e32 v17, v22, v17
	s_delay_alu instid0(VALU_DEP_2) | instskip(SKIP_1) | instid1(VALU_DEP_1)
	v_fmac_f16_e32 v3, 0.5, v19
	v_mul_f16_e32 v19, 0xbaee, v19
	v_fmac_f16_e32 v19, 0.5, v20
	v_mul_f16_e32 v20, -0.5, v2
	s_delay_alu instid0(VALU_DEP_2) | instskip(NEXT) | instid1(VALU_DEP_2)
	v_add_f16_e32 v22, v60, v19
	v_fmac_f16_e32 v20, 0x3aee, v0
	v_mul_f16_e32 v0, -0.5, v0
	v_sub_f16_e32 v19, v60, v19
	s_delay_alu instid0(VALU_DEP_2)
	v_fmac_f16_e32 v0, 0xbaee, v2
	v_add_f16_e32 v2, v52, v21
	v_sub_f16_e32 v21, v52, v21
	v_add_f16_e32 v52, v53, v3
	v_sub_f16_e32 v3, v53, v3
	;; [unrolled: 2-line block ×4, first 2 shown]
	v_pack_b32_f16 v17, v21, v17
	v_add_f16_e64 v21, v23, v143
	v_pack_b32_f16 v22, v52, v22
	v_pack_b32_f16 v52, v53, v60
	;; [unrolled: 1-line block ×3, first 2 shown]
	v_add_f16_e32 v0, v18, v77
	v_pack_b32_f16 v19, v3, v19
	v_pack_b32_f16 v54, v2, v61
	v_add_f16_e64 v77, v77, v149
	s_delay_alu instid0(VALU_DEP_4) | instskip(SKIP_2) | instid1(VALU_DEP_4)
	v_add_f16_e64 v23, v0, v149
	v_add_f16_e32 v0, v21, v120
	v_sub_f16_e32 v21, v21, v120
	v_fmac_f16_e32 v18, -0.5, v77
	v_mul_f16_e32 v77, 0xbaee, v116
	v_add_f16_e32 v1, v23, v121
	v_sub_f16_e32 v23, v23, v121
	s_delay_alu instid0(VALU_DEP_3) | instskip(NEXT) | instid1(VALU_DEP_3)
	v_fmac_f16_e32 v77, 0.5, v117
	v_pack_b32_f16 v53, v0, v1
	ds_load_2addr_b32 v[81:82], v154 offset0:112 offset1:232
	ds_load_2addr_b32 v[0:1], v187 offset0:32 offset1:152
	;; [unrolled: 1-line block ×3, first 2 shown]
	ds_store_b32 v135, v22 offset:2400
	ds_store_b32 v135, v52 offset:4800
	;; [unrolled: 1-line block ×5, first 2 shown]
	ds_store_2addr_b32 v135, v54, v53 offset1:120
	s_clause 0x1
	global_load_b32 v223, v[62:63], off offset:2376
	global_load_b128 v[60:63], v[62:63], off offset:2360
	v_lshrrev_b32_e32 v22, 16, v55
	v_lshrrev_b32_e32 v17, 16, v253
	v_pack_b32_f16 v21, v21, v23
	s_waitcnt lgkmcnt(6)
	v_lshrrev_b32_e32 v175, 16, v2
	v_lshrrev_b32_e32 v128, 16, v3
	s_waitcnt vmcnt(1)
	v_lshrrev_b32_e32 v229, 16, v223
	s_waitcnt vmcnt(0)
	v_lshrrev_b32_e32 v113, 16, v62
	v_lshrrev_b32_e32 v99, 16, v60
	s_delay_alu instid0(VALU_DEP_2) | instskip(SKIP_1) | instid1(VALU_DEP_3)
	v_mul_f16_e32 v52, v22, v113
	v_mul_f16_e32 v123, v55, v113
	;; [unrolled: 1-line block ×3, first 2 shown]
	v_mul_f16_e64 v20, v253, v99
	s_delay_alu instid0(VALU_DEP_4) | instskip(SKIP_1) | instid1(VALU_DEP_4)
	v_fma_f16 v122, v55, v62, -v52
	v_mul_f16_e64 v52, v100, v229
	v_fma_f16 v19, v253, v60, -v19
	s_delay_alu instid0(VALU_DEP_4)
	v_fmac_f16_e32 v20, v17, v60
	v_fmac_f16_e32 v123, v22, v62
	v_lshrrev_b32_e32 v17, 16, v0
	v_fma_f16 v124, v185, v223, -v52
	s_clause 0x1
	global_load_b32 v173, v[79:80], off offset:2376
	global_load_b128 v[52:55], v[79:80], off offset:2360
	v_mul_f16_e64 v185, v185, v229
	v_add_f16_e64 v141, v19, v122
	v_add_f16_e64 v144, v20, v123
	s_delay_alu instid0(VALU_DEP_3)
	v_fmac_f16_e64 v185, v100, v223
	s_waitcnt vmcnt(0)
	v_lshrrev_b32_e32 v252, 16, v52
	v_lshrrev_b32_e32 v253, 16, v54
	;; [unrolled: 1-line block ×4, first 2 shown]
	s_delay_alu instid0(VALU_DEP_4) | instskip(NEXT) | instid1(VALU_DEP_4)
	v_mul_f16_e64 v79, v109, v252
	v_mul_f16_e64 v132, v125, v253
	s_delay_alu instid0(VALU_DEP_2) | instskip(SKIP_1) | instid1(VALU_DEP_3)
	v_fma_f16 v79, v78, v52, -v79
	v_mul_f16_e64 v78, v78, v252
	v_fma_f16 v126, v74, v54, -v132
	v_lshrrev_b32_e32 v132, 16, v63
	v_mul_f16_e64 v74, v74, v253
	s_delay_alu instid0(VALU_DEP_4) | instskip(SKIP_1) | instid1(VALU_DEP_4)
	v_fmac_f16_e32 v78, v109, v52
	v_lshrrev_b32_e32 v109, 16, v61
	v_mul_f16_e64 v127, v2, v132
	s_delay_alu instid0(VALU_DEP_4) | instskip(SKIP_1) | instid1(VALU_DEP_4)
	v_fmac_f16_e32 v74, v125, v54
	v_add_f16_e32 v125, v79, v126
	v_mul_f16_e32 v22, v0, v109
	s_delay_alu instid0(VALU_DEP_4) | instskip(SKIP_1) | instid1(VALU_DEP_3)
	v_fmac_f16_e64 v127, v175, v63
	v_mul_f16_e64 v175, v175, v132
	v_fmac_f16_e32 v22, v17, v61
	v_mul_f16_e32 v17, v17, v109
	s_delay_alu instid0(VALU_DEP_3) | instskip(SKIP_1) | instid1(VALU_DEP_3)
	v_fma_f16 v2, v2, v63, -v175
	v_mul_f16_e64 v175, v128, v179
	v_fma_f16 v0, v0, v61, -v17
	v_lshrrev_b32_e32 v17, 16, v1
	s_delay_alu instid0(VALU_DEP_3) | instskip(SKIP_2) | instid1(VALU_DEP_4)
	v_fma_f16 v129, v3, v55, -v175
	v_mul_f16_e64 v3, v3, v179
	v_lshrrev_b32_e32 v175, 16, v173
	v_mul_f16_e32 v80, v17, v100
	s_delay_alu instid0(VALU_DEP_3) | instskip(NEXT) | instid1(VALU_DEP_3)
	v_fmac_f16_e64 v3, v128, v55
	v_mul_f16_e64 v65, v130, v175
	s_delay_alu instid0(VALU_DEP_3) | instskip(SKIP_1) | instid1(VALU_DEP_3)
	v_fma_f16 v80, v1, v53, -v80
	v_mul_f16_e32 v1, v1, v100
	v_fma_f16 v65, v76, v173, -v65
	v_mul_f16_e64 v76, v76, v175
	s_delay_alu instid0(VALU_DEP_4) | instskip(NEXT) | instid1(VALU_DEP_4)
	v_add_f16_e32 v120, v82, v80
	v_fmac_f16_e32 v1, v17, v53
	v_sub_f16_e64 v17, v75, v143
	v_mul_f16_e32 v75, 0x3aee, v117
	v_lshrrev_b32_e32 v117, 16, v82
	v_fmac_f16_e64 v76, v130, v173
	v_add_f16_e64 v130, v0, v2
	s_delay_alu instid0(VALU_DEP_4) | instskip(SKIP_1) | instid1(VALU_DEP_3)
	v_fmac_f16_e32 v75, 0.5, v116
	v_add_f16_e64 v116, v80, v129
	v_fma_f16 v130, -0.5, v130, v81
	s_delay_alu instid0(VALU_DEP_3) | instskip(NEXT) | instid1(VALU_DEP_3)
	v_add_f16_e64 v137, v146, v75
	v_fmac_f16_e32 v82, -0.5, v116
	v_sub_f16_e32 v116, v1, v3
	s_delay_alu instid0(VALU_DEP_1) | instskip(SKIP_2) | instid1(VALU_DEP_1)
	v_fmamk_f16 v121, v116, 0x3aee, v82
	v_fmac_f16_e32 v82, 0xbaee, v116
	v_add_f16_e32 v116, v126, v65
	v_fmac_f16_e32 v79, -0.5, v116
	v_sub_f16_e32 v116, v74, v76
	s_delay_alu instid0(VALU_DEP_1) | instskip(SKIP_3) | instid1(VALU_DEP_2)
	v_fma_f16 v128, 0x3aee, v116, v79
	v_fmac_f16_e32 v79, 0xbaee, v116
	v_add_f16_e32 v116, v74, v76
	v_add_f16_e32 v74, v78, v74
	v_fmac_f16_e32 v78, -0.5, v116
	v_sub_f16_e32 v116, v126, v65
	s_delay_alu instid0(VALU_DEP_1) | instskip(SKIP_2) | instid1(VALU_DEP_1)
	v_fmamk_f16 v126, v116, 0xbaee, v78
	v_fmac_f16_e32 v78, 0x3aee, v116
	v_mul_f16_e32 v116, -0.5, v79
	v_fmac_f16_e32 v116, 0x3aee, v78
	s_delay_alu instid0(VALU_DEP_1)
	v_add_f16_e64 v143, v82, v116
	v_sub_f16_e64 v149, v82, v116
	v_lshrrev_b32_e32 v82, 16, v81
	v_add_f16_e32 v116, v22, v127
	v_add_f16_e32 v81, v81, v0
	v_sub_f16_e32 v0, v0, v2
	s_delay_alu instid0(VALU_DEP_4) | instskip(NEXT) | instid1(VALU_DEP_4)
	v_add_f16_e64 v133, v82, v22
	v_fmac_f16_e32 v82, -0.5, v116
	v_add_f16_e32 v116, v122, v124
	v_sub_f16_e32 v22, v22, v127
	s_delay_alu instid0(VALU_DEP_2) | instskip(SKIP_1) | instid1(VALU_DEP_3)
	v_fmac_f16_e32 v19, -0.5, v116
	v_add_f16_e64 v116, v123, v185
	v_fma_f16 v23, 0x3aee, v22, v130
	v_fmac_f16_e64 v130, 0xbaee, v22
	s_delay_alu instid0(VALU_DEP_3) | instskip(SKIP_2) | instid1(VALU_DEP_2)
	v_fmac_f16_e32 v20, -0.5, v116
	v_sub_f16_e32 v116, v122, v124
	v_sub_f16_e64 v122, v123, v185
	v_fmamk_f16 v123, v116, 0xbaee, v20
	s_delay_alu instid0(VALU_DEP_2) | instskip(SKIP_4) | instid1(VALU_DEP_1)
	v_fma_f16 v147, 0x3aee, v122, v19
	v_fmac_f16_e32 v19, 0xbaee, v122
	v_fmac_f16_e32 v20, 0x3aee, v116
	v_add_nc_u32_e32 v116, 0x1400, v135
	v_mul_f16_e32 v114, 0x3aee, v123
	v_fmac_f16_e64 v114, 0.5, v147
	v_mul_f16_e64 v147, 0xbaee, v147
	s_delay_alu instid0(VALU_DEP_2) | instskip(NEXT) | instid1(VALU_DEP_2)
	v_add_f16_e64 v138, v23, v114
	v_fmac_f16_e64 v147, 0.5, v123
	v_fmamk_f16 v123, v17, 0xbaee, v18
	v_fmac_f16_e32 v18, 0x3aee, v17
	v_mul_f16_e64 v17, -0.5, v150
	s_delay_alu instid0(VALU_DEP_3) | instskip(NEXT) | instid1(VALU_DEP_2)
	v_add_f16_e32 v66, v123, v77
	v_fmac_f16_e64 v17, 0xbaee, v184
	v_add_nc_u32_e32 v184, 0x2600, v135
	s_delay_alu instid0(VALU_DEP_3) | instskip(SKIP_3) | instid1(VALU_DEP_3)
	v_pack_b32_f16 v66, v137, v66
	v_fma_f16 v137, 0xbaee, v0, v82
	v_fmac_f16_e32 v82, 0x3aee, v0
	v_mul_f16_e32 v0, -0.5, v19
	v_add_f16_e64 v67, v137, v147
	s_delay_alu instid0(VALU_DEP_2) | instskip(SKIP_1) | instid1(VALU_DEP_3)
	v_fmac_f16_e32 v0, 0x3aee, v20
	v_mul_f16_e32 v20, -0.5, v20
	v_pack_b32_f16 v67, v138, v67
	ds_store_b32 v135, v21 offset:7680
	ds_store_2addr_b32 v131, v66, v67 offset0:80 offset1:200
	v_fmac_f16_e32 v20, 0xbaee, v19
	v_add_f16_e32 v19, v18, v17
	v_add_f16_e64 v21, v130, v0
	v_sub_f16_e32 v17, v18, v17
	v_sub_f16_e64 v0, v130, v0
	v_add_f16_e32 v22, v82, v20
	v_pack_b32_f16 v19, v118, v19
	v_sub_f16_e32 v18, v82, v20
	v_pack_b32_f16 v17, v119, v17
	v_add_f16_e32 v20, v74, v76
	v_pack_b32_f16 v21, v21, v22
	v_sub_f16_e32 v22, v23, v114
	v_sub_f16_e64 v23, v137, v147
	v_pack_b32_f16 v0, v0, v18
	v_add_f16_e64 v18, v144, v185
	ds_store_2addr_b32 v116, v19, v21 offset0:40 offset1:160
	v_sub_f16_e64 v19, v146, v75
	v_sub_f16_e32 v21, v123, v77
	ds_store_2addr_b32 v134, v17, v0 offset0:48 offset1:168
	v_add_f16_e32 v0, v81, v2
	v_add_f16_e64 v2, v133, v127
	v_add_f16_e64 v17, v141, v124
	v_pack_b32_f16 v19, v19, v21
	v_pack_b32_f16 v21, v22, v23
	v_add_f16_e32 v23, v117, v1
	v_add_f16_e32 v1, v1, v3
	;; [unrolled: 1-line block ×3, first 2 shown]
	v_sub_f16_e32 v2, v2, v18
	ds_store_2addr_b32 v184, v19, v21 offset0:88 offset1:208
	v_add_f16_e32 v21, v0, v17
	v_fmac_f16_e32 v117, -0.5, v1
	v_sub_f16_e64 v1, v80, v129
	v_add_f16_e32 v23, v23, v3
	v_add_f16_e32 v19, v125, v65
	v_pack_b32_f16 v21, v21, v22
	v_add_f16_e64 v22, v120, v129
	v_fmamk_f16 v3, v1, 0xbaee, v117
	v_fmac_f16_e32 v117, 0x3aee, v1
	v_mul_f16_e32 v1, -0.5, v78
	v_add_f16_e32 v66, v23, v20
	v_add_f16_e32 v65, v22, v19
	v_sub_f16_e32 v0, v0, v17
	v_sub_f16_e32 v17, v22, v19
	v_fmac_f16_e32 v1, 0xbaee, v79
	v_sub_f16_e32 v19, v23, v20
	v_pack_b32_f16 v65, v65, v66
	v_pack_b32_f16 v0, v0, v2
	v_add_nc_u32_e32 v82, 0x1e00, v135
	v_add_f16_e32 v18, v117, v1
	v_pack_b32_f16 v2, v17, v19
	ds_store_2addr_b32 v154, v21, v65 offset0:112 offset1:232
	v_add_f16_e32 v19, v70, v72
	v_sub_f16_e32 v1, v117, v1
	v_pack_b32_f16 v18, v143, v18
	v_mov_b32_e32 v125, v68
	s_delay_alu instid0(VALU_DEP_3) | instskip(SKIP_4) | instid1(VALU_DEP_2)
	v_pack_b32_f16 v1, v149, v1
	ds_store_b32 v135, v18 offset:6240
	ds_store_2addr_b32 v82, v0, v2 offset0:120 offset1:240
	v_mul_f16_e64 v2, 0xbaee, v128
	v_mul_f16_e32 v0, 0x3aee, v126
	v_fmac_f16_e32 v2, 0.5, v126
	s_delay_alu instid0(VALU_DEP_2) | instskip(NEXT) | instid1(VALU_DEP_2)
	v_fmac_f16_e64 v0, 0.5, v128
	v_add_f16_e32 v18, v3, v2
	v_sub_f16_e32 v2, v3, v2
	v_add_f16_e32 v3, v4, v70
	s_delay_alu instid0(VALU_DEP_4)
	v_add_f16_e32 v17, v121, v0
	v_sub_f16_e32 v0, v121, v0
	v_fmac_f16_e32 v4, -0.5, v19
	v_sub_f16_e32 v19, v71, v73
	v_add_f16_e32 v3, v3, v72
	v_pack_b32_f16 v13, v17, v18
	v_pack_b32_f16 v0, v0, v2
	v_add_f16_e32 v2, v5, v9
	v_add_f16_e32 v17, v6, v11
	;; [unrolled: 1-line block ×3, first 2 shown]
	v_sub_f16_e32 v3, v3, v7
	s_delay_alu instid0(VALU_DEP_2) | instskip(SKIP_2) | instid1(VALU_DEP_2)
	v_pack_b32_f16 v2, v2, v14
	v_fmamk_f16 v14, v19, 0xbaee, v4
	v_fmac_f16_e32 v4, 0x3aee, v19
	v_add_f16_e32 v18, v14, v12
	s_delay_alu instid0(VALU_DEP_1)
	v_pack_b32_f16 v17, v17, v18
	ds_store_b32 v135, v1 offset:13440
	ds_store_b32 v135, v0 offset:11040
	;; [unrolled: 1-line block ×3, first 2 shown]
	ds_store_2addr_b32 v153, v13, v17 offset0:64 offset1:184
	v_mul_f16_e32 v0, -0.5, v8
	v_sub_f16_e32 v2, v6, v11
	v_sub_f16_e32 v1, v5, v9
	;; [unrolled: 1-line block ×3, first 2 shown]
	s_delay_alu instid0(VALU_DEP_4) | instskip(NEXT) | instid1(VALU_DEP_3)
	v_fmac_f16_e32 v0, 0xbaee, v10
	v_pack_b32_f16 v1, v1, v3
	s_delay_alu instid0(VALU_DEP_3) | instskip(NEXT) | instid1(VALU_DEP_3)
	v_pack_b32_f16 v2, v2, v5
	v_add_f16_e32 v6, v4, v0
	v_sub_f16_e32 v0, v4, v0
	s_delay_alu instid0(VALU_DEP_2) | instskip(NEXT) | instid1(VALU_DEP_2)
	v_pack_b32_f16 v4, v15, v6
	v_pack_b32_f16 v0, v16, v0
	ds_store_b32 v135, v4 offset:6720
	ds_store_b32 v135, v1 offset:9120
	;; [unrolled: 1-line block ×4, first 2 shown]
	s_waitcnt lgkmcnt(0)
	s_barrier
	buffer_gl0_inv
	s_clause 0x6
	global_load_b32 v70, v135, s[2:3]
	global_load_b32 v0, v135, s[2:3] offset:1920
	global_load_b32 v1, v135, s[2:3] offset:2400
	global_load_b32 v6, v135, s[2:3] offset:2880
	global_load_b32 v7, v135, s[2:3] offset:3360
	global_load_b32 v8, v135, s[2:3] offset:480
	global_load_b32 v9, v135, s[2:3] offset:960
	ds_load_2addr_b32 v[2:3], v135 offset1:120
	s_waitcnt lgkmcnt(0)
	v_lshrrev_b32_e32 v5, 16, v2
	s_waitcnt vmcnt(6)
	v_lshrrev_b32_e32 v4, 16, v70
	s_delay_alu instid0(VALU_DEP_1) | instskip(NEXT) | instid1(VALU_DEP_3)
	v_mul_f16_e32 v10, v2, v4
	v_mul_f16_e32 v4, v5, v4
	s_delay_alu instid0(VALU_DEP_2) | instskip(NEXT) | instid1(VALU_DEP_2)
	v_fmac_f16_e32 v10, v5, v70
	v_fma_f16 v2, v2, v70, -v4
	s_delay_alu instid0(VALU_DEP_1)
	v_pack_b32_f16 v2, v2, v10
	ds_store_b32 v135, v2
	global_load_b32 v2, v135, s[2:3] offset:1440
	ds_load_2addr_b32 v[4:5], v154 offset0:112 offset1:232
	ds_load_2addr_b32 v[70:71], v115 offset0:96 offset1:216
	s_waitcnt lgkmcnt(1)
	v_lshrrev_b32_e32 v11, 16, v5
	s_waitcnt vmcnt(0)
	v_lshrrev_b32_e32 v10, 16, v2
	s_delay_alu instid0(VALU_DEP_1) | instskip(NEXT) | instid1(VALU_DEP_3)
	v_mul_f16_e32 v12, v5, v10
	v_mul_f16_e32 v10, v11, v10
	s_delay_alu instid0(VALU_DEP_2) | instskip(NEXT) | instid1(VALU_DEP_2)
	v_fmac_f16_e32 v12, v11, v2
	v_fma_f16 v2, v5, v2, -v10
	v_lshrrev_b32_e32 v5, 16, v0
	s_waitcnt lgkmcnt(0)
	v_lshrrev_b32_e32 v10, 16, v70
	s_delay_alu instid0(VALU_DEP_3) | instskip(NEXT) | instid1(VALU_DEP_3)
	v_pack_b32_f16 v2, v2, v12
	v_mul_f16_e32 v11, v70, v5
	s_delay_alu instid0(VALU_DEP_3) | instskip(NEXT) | instid1(VALU_DEP_2)
	v_mul_f16_e32 v5, v10, v5
	v_fmac_f16_e32 v11, v10, v0
	s_delay_alu instid0(VALU_DEP_2) | instskip(SKIP_1) | instid1(VALU_DEP_2)
	v_fma_f16 v0, v70, v0, -v5
	v_add_nc_u32_e32 v5, 0x400, v135
	v_pack_b32_f16 v0, v0, v11
	ds_store_2addr_b32 v5, v2, v0 offset0:104 offset1:224
	v_add_co_u32 v0, s4, s2, v135
	s_delay_alu instid0(VALU_DEP_1) | instskip(NEXT) | instid1(VALU_DEP_2)
	v_add_co_ci_u32_e64 v2, null, s3, 0, s4
	v_add_co_u32 v72, vcc_lo, 0x1000, v0
	s_delay_alu instid0(VALU_DEP_2)
	v_add_co_ci_u32_e32 v73, vcc_lo, 0, v2, vcc_lo
	s_clause 0x3
	global_load_b32 v5, v[72:73], off offset:704
	global_load_b32 v10, v[72:73], off offset:1184
	global_load_b32 v11, v69, s[2:3]
	global_load_b32 v12, v[72:73], off offset:224
	ds_load_2addr_b32 v[69:70], v153 offset0:64 offset1:184
	ds_load_2addr_b32 v[74:75], v110 offset0:48 offset1:168
	v_add_co_u32 v76, vcc_lo, 0x3000, v0
	v_add_co_ci_u32_e32 v77, vcc_lo, 0, v2, vcc_lo
	v_add_co_u32 v65, vcc_lo, 0x2000, v0
	v_add_co_ci_u32_e32 v66, vcc_lo, 0, v2, vcc_lo
	s_waitcnt lgkmcnt(1)
	v_lshrrev_b32_e32 v14, 16, v70
	s_waitcnt vmcnt(0)
	v_lshrrev_b32_e32 v13, 16, v12
	s_delay_alu instid0(VALU_DEP_1) | instskip(NEXT) | instid1(VALU_DEP_3)
	v_mul_f16_e32 v15, v70, v13
	v_mul_f16_e32 v13, v14, v13
	s_delay_alu instid0(VALU_DEP_2) | instskip(NEXT) | instid1(VALU_DEP_2)
	v_fmac_f16_e32 v15, v14, v12
	v_fma_f16 v12, v70, v12, -v13
	v_lshrrev_b32_e32 v13, 16, v5
	s_waitcnt lgkmcnt(0)
	v_lshrrev_b32_e32 v14, 16, v74
	s_delay_alu instid0(VALU_DEP_3) | instskip(NEXT) | instid1(VALU_DEP_3)
	v_pack_b32_f16 v12, v12, v15
	v_mul_f16_e32 v16, v74, v13
	s_delay_alu instid0(VALU_DEP_3) | instskip(NEXT) | instid1(VALU_DEP_2)
	v_mul_f16_e32 v13, v14, v13
	v_fmac_f16_e32 v16, v14, v5
	s_delay_alu instid0(VALU_DEP_2) | instskip(SKIP_1) | instid1(VALU_DEP_2)
	v_fma_f16 v5, v74, v5, -v13
	v_add_nc_u32_e32 v13, 0x1000, v135
	v_pack_b32_f16 v5, v5, v16
	ds_store_2addr_b32 v13, v12, v5 offset0:56 offset1:176
	s_clause 0x3
	global_load_b32 v5, v[76:77], off offset:672
	global_load_b32 v12, v[76:77], off offset:1152
	global_load_b32 v13, v[76:77], off offset:1632
	global_load_b32 v14, v[76:77], off offset:192
	ds_load_2addr_b32 v[76:77], v134 offset0:48 offset1:168
	s_waitcnt lgkmcnt(0)
	v_lshrrev_b32_e32 v16, 16, v77
	s_waitcnt vmcnt(3)
	v_lshrrev_b32_e32 v15, 16, v5
	s_delay_alu instid0(VALU_DEP_1) | instskip(NEXT) | instid1(VALU_DEP_3)
	v_mul_f16_e32 v17, v77, v15
	v_mul_f16_e32 v15, v16, v15
	s_delay_alu instid0(VALU_DEP_2) | instskip(NEXT) | instid1(VALU_DEP_2)
	v_fmac_f16_e32 v17, v16, v5
	v_fma_f16 v5, v77, v5, -v15
	ds_load_2addr_b32 v[77:78], v68 offset0:32 offset1:152
	s_waitcnt vmcnt(2)
	v_lshrrev_b32_e32 v15, 16, v12
	v_pack_b32_f16 v5, v5, v17
	s_waitcnt lgkmcnt(0)
	v_lshrrev_b32_e32 v16, 16, v77
	s_delay_alu instid0(VALU_DEP_3) | instskip(NEXT) | instid1(VALU_DEP_2)
	v_mul_f16_e32 v18, v77, v15
	v_mul_f16_e32 v15, v16, v15
	s_delay_alu instid0(VALU_DEP_2) | instskip(NEXT) | instid1(VALU_DEP_2)
	v_fmac_f16_e32 v18, v16, v12
	v_fma_f16 v12, v77, v12, -v15
	v_add_nc_u32_e32 v15, 0x3200, v135
	s_delay_alu instid0(VALU_DEP_2) | instskip(SKIP_3) | instid1(VALU_DEP_1)
	v_pack_b32_f16 v12, v12, v18
	ds_store_2addr_b32 v15, v5, v12 offset0:40 offset1:160
	v_lshrrev_b32_e32 v5, 16, v71
	v_lshrrev_b32_e32 v12, 16, v1
	v_mul_f16_e32 v15, v5, v12
	v_mul_f16_e32 v12, v71, v12
	s_delay_alu instid0(VALU_DEP_2)
	v_fma_f16 v15, v71, v1, -v15
	ds_load_2addr_b32 v[70:71], v131 offset0:80 offset1:200
	v_fmac_f16_e32 v12, v5, v1
	v_lshrrev_b32_e32 v1, 16, v6
	s_waitcnt lgkmcnt(0)
	v_lshrrev_b32_e32 v5, 16, v70
	s_delay_alu instid0(VALU_DEP_2) | instskip(NEXT) | instid1(VALU_DEP_2)
	v_mul_f16_e32 v16, v70, v1
	v_mul_f16_e32 v1, v5, v1
	s_delay_alu instid0(VALU_DEP_2) | instskip(SKIP_1) | instid1(VALU_DEP_3)
	v_fmac_f16_e32 v16, v5, v6
	v_pack_b32_f16 v5, v15, v12
	v_fma_f16 v1, v70, v6, -v1
	v_add_nc_u32_e32 v6, 0x800, v135
	s_delay_alu instid0(VALU_DEP_2) | instskip(SKIP_3) | instid1(VALU_DEP_1)
	v_pack_b32_f16 v1, v1, v16
	ds_store_2addr_b32 v6, v5, v1 offset0:88 offset1:208
	v_lshrrev_b32_e32 v1, 16, v71
	v_lshrrev_b32_e32 v5, 16, v7
	v_mul_f16_e32 v6, v1, v5
	v_mul_f16_e32 v5, v71, v5
	s_delay_alu instid0(VALU_DEP_2) | instskip(NEXT) | instid1(VALU_DEP_2)
	v_fma_f16 v6, v71, v7, -v6
	v_fmac_f16_e32 v5, v1, v7
	global_load_b32 v1, v135, s[2:3] offset:3840
	v_lshrrev_b32_e32 v7, 16, v69
	s_waitcnt vmcnt(0)
	v_lshrrev_b32_e32 v12, 16, v1
	s_delay_alu instid0(VALU_DEP_1) | instskip(SKIP_1) | instid1(VALU_DEP_2)
	v_mul_f16_e32 v15, v7, v12
	v_mul_f16_e32 v12, v69, v12
	v_fma_f16 v15, v69, v1, -v15
	s_delay_alu instid0(VALU_DEP_2) | instskip(SKIP_2) | instid1(VALU_DEP_3)
	v_fmac_f16_e32 v12, v7, v1
	v_pack_b32_f16 v1, v6, v5
	v_add_nc_u32_e32 v6, 0xc00, v135
	v_pack_b32_f16 v5, v15, v12
	ds_store_2addr_b32 v6, v1, v5 offset0:72 offset1:192
	s_clause 0x2
	global_load_b32 v1, v[72:73], off offset:2144
	global_load_b32 v5, v[72:73], off offset:2624
	;; [unrolled: 1-line block ×3, first 2 shown]
	ds_load_2addr_b32 v[69:70], v187 offset0:32 offset1:152
	s_waitcnt lgkmcnt(0)
	v_lshrrev_b32_e32 v12, 16, v70
	s_waitcnt vmcnt(2)
	v_lshrrev_b32_e32 v7, 16, v1
	s_delay_alu instid0(VALU_DEP_1) | instskip(NEXT) | instid1(VALU_DEP_3)
	v_mul_f16_e32 v15, v70, v7
	v_mul_f16_e32 v7, v12, v7
	s_delay_alu instid0(VALU_DEP_2) | instskip(NEXT) | instid1(VALU_DEP_2)
	v_fmac_f16_e32 v15, v12, v1
	v_fma_f16 v1, v70, v1, -v7
	ds_load_2addr_b32 v[70:71], v142 offset0:16 offset1:136
	s_waitcnt vmcnt(1)
	v_lshrrev_b32_e32 v7, 16, v5
	v_pack_b32_f16 v1, v1, v15
	s_waitcnt lgkmcnt(0)
	v_lshrrev_b32_e32 v12, 16, v70
	s_delay_alu instid0(VALU_DEP_3) | instskip(NEXT) | instid1(VALU_DEP_2)
	v_mul_f16_e32 v16, v70, v7
	v_mul_f16_e32 v7, v12, v7
	s_delay_alu instid0(VALU_DEP_2) | instskip(NEXT) | instid1(VALU_DEP_2)
	v_fmac_f16_e32 v16, v12, v5
	v_fma_f16 v5, v70, v5, -v7
	v_add_nc_u32_e32 v7, 0x1800, v135
	s_delay_alu instid0(VALU_DEP_2)
	v_pack_b32_f16 v5, v5, v16
	ds_store_2addr_b32 v7, v1, v5 offset0:24 offset1:144
	s_clause 0x4
	global_load_b32 v0, v[65:66], off offset:928
	global_load_b32 v1, v[65:66], off offset:1408
	;; [unrolled: 1-line block ×5, first 2 shown]
	ds_load_2addr_b32 v[79:80], v148 offset0:112 offset1:232
	s_waitcnt lgkmcnt(0)
	v_lshrrev_b32_e32 v15, 16, v80
	s_waitcnt vmcnt(4)
	v_lshrrev_b32_e32 v12, 16, v0
	s_delay_alu instid0(VALU_DEP_1) | instskip(NEXT) | instid1(VALU_DEP_3)
	v_mul_f16_e32 v16, v80, v12
	v_mul_f16_e32 v12, v15, v12
	s_delay_alu instid0(VALU_DEP_2) | instskip(NEXT) | instid1(VALU_DEP_2)
	v_fmac_f16_e32 v16, v15, v0
	v_fma_f16 v0, v80, v0, -v12
	ds_load_2addr_b32 v[80:81], v145 offset0:96 offset1:216
	s_waitcnt vmcnt(3)
	v_lshrrev_b32_e32 v12, 16, v1
	v_pack_b32_f16 v0, v0, v16
	s_waitcnt lgkmcnt(0)
	v_lshrrev_b32_e32 v15, 16, v80
	s_delay_alu instid0(VALU_DEP_3) | instskip(NEXT) | instid1(VALU_DEP_2)
	v_mul_f16_e32 v17, v80, v12
	v_mul_f16_e32 v12, v15, v12
	s_delay_alu instid0(VALU_DEP_2) | instskip(NEXT) | instid1(VALU_DEP_2)
	v_fmac_f16_e32 v17, v15, v1
	v_fma_f16 v1, v80, v1, -v12
	v_add_nc_u32_e32 v12, 0x2200, v135
	s_delay_alu instid0(VALU_DEP_2)
	v_pack_b32_f16 v1, v1, v17
	ds_store_2addr_b32 v12, v0, v1 offset0:104 offset1:224
	s_clause 0x2
	global_load_b32 v0, v[65:66], off offset:3328
	global_load_b32 v12, v[65:66], off offset:2848
	;; [unrolled: 1-line block ×3, first 2 shown]
	ds_load_2addr_b32 v[65:66], v192 offset0:64 offset1:184
	s_waitcnt lgkmcnt(0)
	v_lshrrev_b32_e32 v16, 16, v65
	s_waitcnt vmcnt(2)
	v_lshrrev_b32_e32 v1, 16, v0
	s_waitcnt vmcnt(1)
	v_lshrrev_b32_e32 v18, 16, v12
	s_delay_alu instid0(VALU_DEP_2) | instskip(SKIP_1) | instid1(VALU_DEP_2)
	v_mul_f16_e32 v17, v65, v1
	v_mul_f16_e32 v1, v16, v1
	v_fmac_f16_e32 v17, v16, v0
	s_delay_alu instid0(VALU_DEP_2) | instskip(SKIP_4) | instid1(VALU_DEP_2)
	v_fma_f16 v16, v65, v0, -v1
	ds_load_2addr_b32 v[0:1], v105 offset0:80 offset1:200
	s_waitcnt lgkmcnt(0)
	v_lshrrev_b32_e32 v19, 16, v1
	v_mul_f16_e32 v20, v1, v18
	v_mul_f16_e32 v18, v19, v18
	s_delay_alu instid0(VALU_DEP_2) | instskip(NEXT) | instid1(VALU_DEP_2)
	v_fmac_f16_e32 v20, v19, v12
	v_fma_f16 v1, v1, v12, -v18
	v_pack_b32_f16 v12, v16, v17
	v_add_nc_u32_e32 v16, 0x2a00, v135
	s_delay_alu instid0(VALU_DEP_3) | instskip(SKIP_4) | instid1(VALU_DEP_1)
	v_pack_b32_f16 v1, v1, v20
	ds_store_2addr_b32 v16, v1, v12 offset0:72 offset1:192
	v_lshrrev_b32_e32 v1, 16, v66
	s_waitcnt vmcnt(0)
	v_lshrrev_b32_e32 v12, 16, v15
	v_mul_f16_e32 v16, v1, v12
	v_mul_f16_e32 v12, v66, v12
	s_delay_alu instid0(VALU_DEP_2) | instskip(NEXT) | instid1(VALU_DEP_2)
	v_fma_f16 v16, v66, v15, -v16
	v_fmac_f16_e32 v12, v1, v15
	v_lshrrev_b32_e32 v1, 16, v76
	v_lshrrev_b32_e32 v15, 16, v14
	s_delay_alu instid0(VALU_DEP_1) | instskip(SKIP_1) | instid1(VALU_DEP_2)
	v_mul_f16_e32 v17, v1, v15
	v_mul_f16_e32 v15, v76, v15
	v_fma_f16 v17, v76, v14, -v17
	s_delay_alu instid0(VALU_DEP_2) | instskip(SKIP_2) | instid1(VALU_DEP_3)
	v_fmac_f16_e32 v15, v1, v14
	v_pack_b32_f16 v1, v16, v12
	v_add_nc_u32_e32 v14, 0x2e00, v135
	v_pack_b32_f16 v12, v17, v15
	v_lshrrev_b32_e32 v15, 16, v71
	ds_store_2addr_b32 v14, v1, v12 offset0:56 offset1:176
	v_lshrrev_b32_e32 v1, 16, v69
	v_lshrrev_b32_e32 v12, 16, v6
	s_delay_alu instid0(VALU_DEP_1) | instskip(SKIP_1) | instid1(VALU_DEP_2)
	v_mul_f16_e32 v14, v1, v12
	v_mul_f16_e32 v12, v69, v12
	v_fma_f16 v14, v69, v6, -v14
	s_delay_alu instid0(VALU_DEP_2)
	v_fmac_f16_e32 v12, v1, v6
	s_clause 0x1
	global_load_b32 v1, v[72:73], off offset:3104
	global_load_b32 v6, v[72:73], off offset:4064
	s_waitcnt vmcnt(1)
	v_lshrrev_b32_e32 v16, 16, v1
	s_delay_alu instid0(VALU_DEP_1) | instskip(SKIP_1) | instid1(VALU_DEP_2)
	v_mul_f16_e32 v17, v15, v16
	v_mul_f16_e32 v16, v71, v16
	v_fma_f16 v17, v71, v1, -v17
	s_delay_alu instid0(VALU_DEP_2) | instskip(SKIP_2) | instid1(VALU_DEP_1)
	v_fmac_f16_e32 v16, v15, v1
	v_lshrrev_b32_e32 v1, 16, v79
	v_lshrrev_b32_e32 v15, 16, v7
	v_mul_f16_e32 v18, v1, v15
	v_mul_f16_e32 v15, v79, v15
	s_delay_alu instid0(VALU_DEP_2) | instskip(NEXT) | instid1(VALU_DEP_2)
	v_fma_f16 v18, v79, v7, -v18
	v_fmac_f16_e32 v15, v1, v7
	v_lshrrev_b32_e32 v1, 16, v81
	v_lshrrev_b32_e32 v7, 16, v2
	s_delay_alu instid0(VALU_DEP_1) | instskip(SKIP_1) | instid1(VALU_DEP_2)
	v_mul_f16_e32 v19, v1, v7
	v_mul_f16_e32 v7, v81, v7
	v_fma_f16 v19, v81, v2, -v19
	s_delay_alu instid0(VALU_DEP_2) | instskip(SKIP_2) | instid1(VALU_DEP_1)
	v_fmac_f16_e32 v7, v1, v2
	v_lshrrev_b32_e32 v1, 16, v3
	v_lshrrev_b32_e32 v2, 16, v8
	v_mul_f16_e32 v20, v1, v2
	v_mul_f16_e32 v2, v3, v2
	s_delay_alu instid0(VALU_DEP_2) | instskip(NEXT) | instid1(VALU_DEP_2)
	v_fma_f16 v3, v3, v8, -v20
	v_fmac_f16_e32 v2, v1, v8
	v_lshrrev_b32_e32 v1, 16, v0
	v_lshrrev_b32_e32 v8, 16, v5
	s_delay_alu instid0(VALU_DEP_1) | instskip(SKIP_1) | instid1(VALU_DEP_2)
	v_mul_f16_e32 v20, v1, v8
	v_mul_f16_e32 v8, v0, v8
	v_fma_f16 v20, v0, v5, -v20
	s_delay_alu instid0(VALU_DEP_2) | instskip(SKIP_4) | instid1(VALU_DEP_2)
	v_fmac_f16_e32 v8, v1, v5
	ds_load_2addr_b32 v[0:1], v139 offset0:128 offset1:248
	v_lshrrev_b32_e32 v5, 16, v11
	s_waitcnt lgkmcnt(0)
	v_lshrrev_b32_e32 v21, 16, v0
	v_mul_f16_e32 v22, v0, v5
	s_delay_alu instid0(VALU_DEP_2) | instskip(NEXT) | instid1(VALU_DEP_2)
	v_mul_f16_e32 v5, v21, v5
	v_fmac_f16_e32 v22, v21, v11
	s_delay_alu instid0(VALU_DEP_2) | instskip(SKIP_1) | instid1(VALU_DEP_2)
	v_fma_f16 v0, v0, v11, -v5
	v_pack_b32_f16 v5, v17, v16
	v_pack_b32_f16 v0, v0, v22
	ds_store_2addr_b32 v139, v5, v0 offset0:8 offset1:128
	v_pack_b32_f16 v0, v19, v7
	v_pack_b32_f16 v5, v20, v8
	ds_store_2addr_b32 v184, v0, v5 offset0:88 offset1:208
	v_lshrrev_b32_e32 v0, 16, v4
	v_lshrrev_b32_e32 v5, 16, v9
	s_delay_alu instid0(VALU_DEP_1) | instskip(SKIP_1) | instid1(VALU_DEP_2)
	v_mul_f16_e32 v7, v0, v5
	v_mul_f16_e32 v5, v4, v5
	v_fma_f16 v4, v4, v9, -v7
	s_delay_alu instid0(VALU_DEP_2) | instskip(SKIP_2) | instid1(VALU_DEP_1)
	v_fmac_f16_e32 v5, v0, v9
	v_lshrrev_b32_e32 v0, 16, v75
	v_lshrrev_b32_e32 v7, 16, v10
	v_mul_f16_e32 v8, v0, v7
	v_mul_f16_e32 v7, v75, v7
	s_delay_alu instid0(VALU_DEP_2) | instskip(NEXT) | instid1(VALU_DEP_2)
	v_fma_f16 v8, v75, v10, -v8
	v_fmac_f16_e32 v7, v0, v10
	v_pack_b32_f16 v0, v3, v2
	v_pack_b32_f16 v2, v4, v5
	ds_store_2addr_b32 v135, v0, v2 offset0:120 offset1:240
	v_pack_b32_f16 v0, v14, v12
	v_pack_b32_f16 v2, v8, v7
	ds_store_2addr_b32 v116, v2, v0 offset0:40 offset1:160
	v_lshrrev_b32_e32 v0, 16, v1
	s_waitcnt vmcnt(0)
	v_lshrrev_b32_e32 v2, 16, v6
	s_delay_alu instid0(VALU_DEP_1) | instskip(SKIP_1) | instid1(VALU_DEP_2)
	v_mul_f16_e32 v3, v0, v2
	v_mul_f16_e32 v2, v1, v2
	v_fma_f16 v1, v1, v6, -v3
	s_delay_alu instid0(VALU_DEP_2) | instskip(SKIP_2) | instid1(VALU_DEP_3)
	v_fmac_f16_e32 v2, v0, v6
	v_lshrrev_b32_e32 v0, 16, v78
	v_lshrrev_b32_e32 v3, 16, v13
	v_pack_b32_f16 v1, v1, v2
	s_delay_alu instid0(VALU_DEP_2) | instskip(SKIP_1) | instid1(VALU_DEP_2)
	v_mul_f16_e32 v4, v0, v3
	v_mul_f16_e32 v3, v78, v3
	v_fma_f16 v4, v78, v13, -v4
	s_delay_alu instid0(VALU_DEP_2)
	v_fmac_f16_e32 v3, v0, v13
	v_pack_b32_f16 v0, v18, v15
	ds_store_2addr_b32 v82, v1, v0 offset0:120 offset1:240
	v_pack_b32_f16 v0, v4, v3
	ds_store_b32 v135, v0 offset:13920
	s_waitcnt lgkmcnt(0)
	s_barrier
	buffer_gl0_inv
	ds_load_2addr_b32 v[67:68], v148 offset0:112 offset1:232
	ds_load_2addr_b32 v[65:66], v192 offset0:64 offset1:184
	;; [unrolled: 1-line block ×4, first 2 shown]
	ds_load_2addr_b32 v[20:21], v135 offset1:120
	ds_load_2addr_b32 v[71:72], v145 offset0:96 offset1:216
	ds_load_2addr_b32 v[69:70], v134 offset0:48 offset1:168
	;; [unrolled: 1-line block ×5, first 2 shown]
	s_waitcnt lgkmcnt(9)
	v_lshrrev_b32_e32 v2, 16, v67
	s_waitcnt lgkmcnt(8)
	v_sub_f16_e32 v0, v67, v65
	s_waitcnt lgkmcnt(6)
	v_sub_f16_e32 v1, v10, v12
	v_lshrrev_b32_e32 v5, 16, v12
	v_lshrrev_b32_e32 v6, 16, v65
	s_waitcnt lgkmcnt(5)
	v_lshrrev_b32_e32 v23, 16, v20
	v_sub_f16_e32 v14, v12, v65
	v_add_f16_e32 v0, v1, v0
	v_add_f16_e32 v1, v12, v65
	v_sub_f16_e32 v7, v5, v6
	v_sub_f16_e32 v8, v2, v6
	s_waitcnt lgkmcnt(1)
	v_sub_f16_e32 v15, v78, v76
	v_lshrrev_b32_e32 v18, 16, v78
	v_fma_f16 v22, -0.5, v1, v20
	v_lshrrev_b32_e32 v1, 16, v10
	v_lshrrev_b32_e32 v19, 16, v72
	;; [unrolled: 1-line block ×4, first 2 shown]
	s_waitcnt lgkmcnt(0)
	v_lshrrev_b32_e32 v17, 16, v74
	v_sub_f16_e32 v3, v1, v2
	v_sub_f16_e32 v114, v18, v19
	;; [unrolled: 1-line block ×4, first 2 shown]
	v_add_f16_e32 v118, v79, v80
	v_fmamk_f16 v4, v3, 0x3b9c, v22
	v_fmac_f16_e32 v22, 0xbb9c, v3
	v_sub_f16_e32 v119, v19, v80
	s_delay_alu instid0(VALU_DEP_3) | instskip(NEXT) | instid1(VALU_DEP_3)
	v_fmac_f16_e32 v4, 0xb8b4, v7
	v_fmac_f16_e32 v22, 0x38b4, v7
	s_delay_alu instid0(VALU_DEP_2) | instskip(NEXT) | instid1(VALU_DEP_2)
	v_fmac_f16_e32 v4, 0x34f2, v0
	v_fmac_f16_e32 v22, 0x34f2, v0
	v_add_f16_e32 v0, v1, v2
	v_sub_f16_e32 v2, v6, v2
	s_delay_alu instid0(VALU_DEP_2) | instskip(SKIP_2) | instid1(VALU_DEP_2)
	v_fma_f16 v81, -0.5, v0, v23
	v_add_f16_e32 v0, v5, v6
	v_sub_f16_e32 v6, v12, v10
	v_fmac_f16_e32 v23, -0.5, v0
	v_sub_f16_e32 v0, v1, v5
	v_sub_f16_e32 v1, v5, v1
	;; [unrolled: 1-line block ×3, first 2 shown]
	s_delay_alu instid0(VALU_DEP_3) | instskip(SKIP_1) | instid1(VALU_DEP_3)
	v_add_f16_e32 v0, v0, v8
	v_sub_f16_e32 v8, v10, v67
	v_add_f16_e32 v5, v6, v5
	v_add_f16_e32 v1, v1, v2
	v_sub_f16_e32 v2, v79, v18
	v_sub_f16_e32 v6, v80, v19
	v_fmamk_f16 v9, v8, 0xbb9c, v23
	v_fmac_f16_e32 v23, 0x3b9c, v8
	s_delay_alu instid0(VALU_DEP_3) | instskip(NEXT) | instid1(VALU_DEP_3)
	v_add_f16_e32 v2, v2, v6
	v_fmac_f16_e32 v9, 0x38b4, v14
	s_delay_alu instid0(VALU_DEP_3) | instskip(SKIP_1) | instid1(VALU_DEP_3)
	v_fmac_f16_e32 v23, 0xb8b4, v14
	v_add_f16_e32 v6, v78, v72
	v_fmac_f16_e32 v9, 0x34f2, v0
	s_delay_alu instid0(VALU_DEP_3) | instskip(SKIP_1) | instid1(VALU_DEP_4)
	v_fmac_f16_e32 v23, 0x34f2, v0
	v_sub_f16_e32 v0, v72, v70
	v_fma_f16 v6, -0.5, v6, v74
	s_delay_alu instid0(VALU_DEP_2) | instskip(SKIP_1) | instid1(VALU_DEP_1)
	v_add_f16_e32 v0, v15, v0
	v_add_f16_e32 v15, v76, v70
	v_fma_f16 v15, -0.5, v15, v74
	s_delay_alu instid0(VALU_DEP_1) | instskip(SKIP_1) | instid1(VALU_DEP_2)
	v_fmamk_f16 v16, v114, 0x3b9c, v15
	v_fmac_f16_e32 v15, 0xbb9c, v114
	v_fmac_f16_e32 v16, 0xb8b4, v117
	s_delay_alu instid0(VALU_DEP_2) | instskip(NEXT) | instid1(VALU_DEP_2)
	v_fmac_f16_e32 v15, 0x38b4, v117
	v_fmac_f16_e32 v16, 0x34f2, v0
	s_delay_alu instid0(VALU_DEP_2) | instskip(SKIP_2) | instid1(VALU_DEP_2)
	v_fmac_f16_e32 v15, 0x34f2, v0
	v_add_f16_e32 v0, v18, v19
	v_sub_f16_e32 v19, v76, v78
	v_fma_f16 v0, -0.5, v0, v17
	v_fmac_f16_e32 v17, -0.5, v118
	v_sub_f16_e32 v118, v18, v79
	v_sub_f16_e32 v18, v70, v72
	v_fmamk_f16 v79, v117, 0xbb9c, v6
	v_fmac_f16_e32 v6, 0x3b9c, v117
	s_delay_alu instid0(VALU_DEP_4)
	v_add_f16_e32 v118, v118, v119
	v_sub_f16_e32 v119, v78, v72
	v_add_f16_e32 v18, v19, v18
	v_fmamk_f16 v19, v121, 0x3b9c, v0
	v_fmac_f16_e32 v79, 0xb8b4, v114
	v_fmac_f16_e32 v0, 0xbb9c, v121
	v_fmamk_f16 v120, v119, 0xbb9c, v17
	v_fmac_f16_e32 v17, 0x3b9c, v119
	v_fmac_f16_e32 v19, 0x38b4, v119
	;; [unrolled: 1-line block ×7, first 2 shown]
	v_mul_f16_e32 v124, 0x38b4, v79
	v_fmac_f16_e32 v0, 0x34f2, v2
	v_fmac_f16_e32 v120, 0x34f2, v118
	;; [unrolled: 1-line block ×5, first 2 shown]
	v_mul_f16_e32 v114, 0xb8b4, v0
	v_mul_f16_e32 v117, 0xba79, v0
	;; [unrolled: 1-line block ×4, first 2 shown]
	v_pk_add_f16 v0, v20, v12
	v_fmac_f16_e32 v6, 0x34f2, v18
	v_sub_f16_e32 v12, v11, v68
	v_fmac_f16_e32 v118, 0xb4f2, v15
	v_fmac_f16_e32 v122, 0x3b9c, v15
	v_mul_f16_e32 v15, 0xbb9c, v120
	v_mul_f16_e32 v120, 0x34f2, v120
	v_pk_add_f16 v0, v0, v10
	v_fmac_f16_e32 v114, 0xba79, v6
	v_add_f16_e32 v17, v23, v122
	v_fmac_f16_e32 v15, 0x34f2, v16
	v_fmac_f16_e32 v120, 0x3b9c, v16
	v_add_f16_e32 v16, v22, v118
	v_pk_add_f16 v0, v0, v67
	v_fmac_f16_e32 v117, 0x38b4, v6
	s_delay_alu instid0(VALU_DEP_4) | instskip(NEXT) | instid1(VALU_DEP_4)
	v_add_f16_e32 v123, v9, v120
	v_pack_b32_f16 v17, v16, v17
	v_add_f16_e32 v16, v4, v15
	v_sub_f16_e32 v4, v4, v15
	v_add_f16_e32 v15, v10, v67
	v_sub_f16_e32 v9, v9, v120
	v_sub_f16_e32 v10, v68, v66
	v_pack_b32_f16 v16, v16, v123
	v_mul_f16_e32 v123, 0xb8b4, v19
	v_fma_f16 v120, -0.5, v15, v20
	v_fmamk_f16 v19, v14, 0x3b9c, v81
	v_fmac_f16_e32 v81, 0xbb9c, v14
	v_pack_b32_f16 v80, v4, v9
	v_fmac_f16_e32 v123, 0x3a79, v79
	v_fmamk_f16 v15, v7, 0xbb9c, v120
	v_fmac_f16_e32 v19, 0x38b4, v8
	v_fmac_f16_e32 v81, 0xb8b4, v8
	v_fmac_f16_e32 v120, 0x3b9c, v7
	v_lshrrev_b32_e32 v20, 16, v13
	v_fmac_f16_e32 v15, 0xb8b4, v3
	v_fmac_f16_e32 v19, 0x34f2, v1
	;; [unrolled: 1-line block ×3, first 2 shown]
	v_pk_add_f16 v1, v74, v76
	v_fmac_f16_e32 v120, 0x38b4, v3
	v_fmac_f16_e32 v15, 0x34f2, v5
	v_sub_f16_e32 v9, v19, v124
	v_add_f16_e32 v2, v19, v124
	v_pk_add_f16 v1, v1, v78
	v_fmac_f16_e32 v120, 0x34f2, v5
	v_sub_f16_e32 v4, v15, v123
	v_pk_add_f16 v3, v0, v65
	v_lshrrev_b32_e32 v65, 16, v66
	v_pk_add_f16 v1, v1, v72
	s_delay_alu instid0(VALU_DEP_4) | instskip(SKIP_1) | instid1(VALU_DEP_3)
	v_pack_b32_f16 v79, v4, v9
	v_add_f16_e32 v4, v15, v123
	v_pk_add_f16 v5, v1, v70
	s_delay_alu instid0(VALU_DEP_2) | instskip(SKIP_2) | instid1(VALU_DEP_4)
	v_pack_b32_f16 v1, v4, v2
	v_add_f16_e32 v2, v120, v114
	v_add_f16_e32 v4, v81, v117
	v_pk_add_f16 v0, v3, v5
	v_pk_add_f16 v3, v3, v5 neg_lo:[0,1] neg_hi:[0,1]
	s_delay_alu instid0(VALU_DEP_3)
	v_pack_b32_f16 v2, v2, v4
	ds_load_2addr_b32 v[14:15], v115 offset0:96 offset1:216
	ds_load_2addr_b32 v[8:9], v110 offset0:48 offset1:168
	;; [unrolled: 1-line block ×5, first 2 shown]
	s_waitcnt lgkmcnt(0)
	s_barrier
	buffer_gl0_inv
	ds_store_2addr_b64 v161, v[0:1], v[16:17] offset1:1
	ds_store_2addr_b64 v161, v[2:3], v[79:80] offset0:2 offset1:3
	v_sub_f16_e32 v0, v22, v118
	v_sub_f16_e32 v1, v120, v114
	;; [unrolled: 1-line block ×4, first 2 shown]
	v_lshrrev_b32_e32 v16, 16, v11
	v_sub_f16_e32 v17, v13, v11
	v_add_f16_e32 v22, v13, v66
	v_pack_b32_f16 v1, v1, v2
	v_pack_b32_f16 v0, v0, v3
	v_lshrrev_b32_e32 v2, 16, v68
	v_sub_f16_e32 v3, v66, v68
	v_fma_f16 v22, -0.5, v22, v21
	v_lshrrev_b32_e32 v79, 16, v8
	ds_store_b64 v161, v[0:1] offset:32
	v_pk_add_f16 v0, v21, v13
	v_add_f16_e32 v1, v11, v68
	v_lshrrev_b32_e32 v72, 16, v4
	v_lshrrev_b32_e32 v74, 16, v18
	;; [unrolled: 1-line block ×3, first 2 shown]
	v_pk_add_f16 v0, v0, v11
	v_sub_f16_e32 v11, v11, v13
	v_sub_f16_e32 v13, v13, v66
	v_fma_f16 v67, -0.5, v1, v21
	v_lshrrev_b32_e32 v21, 16, v21
	v_pk_add_f16 v0, v0, v68
	v_sub_f16_e32 v1, v2, v65
	v_sub_f16_e32 v76, v72, v74
	;; [unrolled: 1-line block ×3, first 2 shown]
	v_lshrrev_b32_e32 v114, 16, v14
	v_pk_add_f16 v23, v0, v66
	v_add_f16_e32 v0, v11, v10
	v_sub_f16_e32 v10, v16, v2
	v_sub_f16_e32 v66, v20, v65
	;; [unrolled: 1-line block ×4, first 2 shown]
	v_add_f16_e32 v17, v17, v3
	v_fmamk_f16 v11, v10, 0x3b9c, v22
	v_fmac_f16_e32 v22, 0xbb9c, v10
	v_sub_f16_e32 v3, v80, v74
	s_delay_alu instid0(VALU_DEP_3) | instskip(NEXT) | instid1(VALU_DEP_3)
	v_fmac_f16_e32 v11, 0xb8b4, v66
	v_fmac_f16_e32 v22, 0x38b4, v66
	s_delay_alu instid0(VALU_DEP_2) | instskip(NEXT) | instid1(VALU_DEP_2)
	v_fmac_f16_e32 v11, 0x34f2, v0
	v_fmac_f16_e32 v22, 0x34f2, v0
	v_add_f16_e32 v0, v16, v2
	v_sub_f16_e32 v2, v65, v2
	s_delay_alu instid0(VALU_DEP_2) | instskip(SKIP_2) | instid1(VALU_DEP_2)
	v_fma_f16 v68, -0.5, v0, v21
	v_add_f16_e32 v0, v20, v65
	v_sub_f16_e32 v65, v8, v4
	v_fmac_f16_e32 v21, -0.5, v0
	v_sub_f16_e32 v0, v16, v20
	v_sub_f16_e32 v16, v20, v16
	;; [unrolled: 1-line block ×3, first 2 shown]
	s_delay_alu instid0(VALU_DEP_4)
	v_fmamk_f16 v70, v12, 0xbb9c, v21
	v_fmac_f16_e32 v21, 0x3b9c, v12
	v_add_f16_e32 v0, v0, v1
	v_sub_f16_e32 v1, v4, v8
	v_add_f16_e32 v16, v16, v2
	v_fmac_f16_e32 v70, 0x38b4, v13
	v_fmac_f16_e32 v21, 0xb8b4, v13
	v_sub_f16_e32 v2, v79, v72
	v_add_f16_e32 v20, v65, v20
	s_delay_alu instid0(VALU_DEP_4) | instskip(NEXT) | instid1(VALU_DEP_4)
	v_fmac_f16_e32 v70, 0x34f2, v0
	v_fmac_f16_e32 v21, 0x34f2, v0
	v_sub_f16_e32 v0, v18, v6
	v_add_f16_e32 v65, v2, v3
	v_add_f16_e32 v2, v4, v18
	s_delay_alu instid0(VALU_DEP_3) | instskip(SKIP_2) | instid1(VALU_DEP_2)
	v_add_f16_e32 v0, v1, v0
	v_add_f16_e32 v1, v8, v6
	v_pk_add_f16 v8, v14, v8
	v_fma_f16 v1, -0.5, v1, v14
	s_delay_alu instid0(VALU_DEP_1) | instskip(SKIP_1) | instid1(VALU_DEP_2)
	v_fmamk_f16 v78, v76, 0x3b9c, v1
	v_fmac_f16_e32 v1, 0xbb9c, v76
	v_fmac_f16_e32 v78, 0xb8b4, v81
	s_delay_alu instid0(VALU_DEP_2) | instskip(NEXT) | instid1(VALU_DEP_2)
	v_fmac_f16_e32 v1, 0x38b4, v81
	v_fmac_f16_e32 v78, 0x34f2, v0
	s_delay_alu instid0(VALU_DEP_2) | instskip(SKIP_1) | instid1(VALU_DEP_1)
	v_fmac_f16_e32 v1, 0x34f2, v0
	v_add_f16_e32 v0, v72, v74
	v_fma_f16 v117, -0.5, v0, v114
	v_add_f16_e32 v0, v79, v80
	s_delay_alu instid0(VALU_DEP_1)
	v_fmac_f16_e32 v114, -0.5, v0
	v_sub_f16_e32 v0, v72, v79
	v_fma_f16 v72, -0.5, v2, v14
	v_fmamk_f16 v2, v120, 0x3b9c, v117
	v_fmac_f16_e32 v117, 0xbb9c, v120
	v_sub_f16_e32 v14, v75, v69
	v_add_f16_e32 v0, v0, v118
	v_sub_f16_e32 v118, v4, v18
	v_fmamk_f16 v3, v81, 0xbb9c, v72
	v_fmac_f16_e32 v72, 0x3b9c, v81
	v_pk_add_f16 v4, v8, v4
	v_lshrrev_b32_e32 v8, 16, v77
	v_fmamk_f16 v119, v118, 0xbb9c, v114
	v_fmac_f16_e32 v114, 0x3b9c, v118
	v_fmac_f16_e32 v2, 0x38b4, v118
	;; [unrolled: 1-line block ×11, first 2 shown]
	v_mul_f16_e32 v74, 0xb8b4, v2
	v_fmac_f16_e32 v117, 0x34f2, v65
	v_fmac_f16_e32 v72, 0x34f2, v20
	v_mul_f16_e32 v122, 0xbb9c, v119
	v_mul_f16_e32 v121, 0xbb9c, v114
	v_mul_f16_e32 v114, 0xb4f2, v114
	v_mul_f16_e32 v119, 0x34f2, v119
	v_fmac_f16_e32 v74, 0x3a79, v3
	v_fmac_f16_e32 v122, 0x34f2, v78
	;; [unrolled: 1-line block ×5, first 2 shown]
	v_pk_add_f16 v4, v4, v18
	v_lshrrev_b32_e32 v65, 16, v19
	v_add_f16_e32 v0, v22, v121
	v_add_f16_e32 v1, v21, v114
	;; [unrolled: 1-line block ×3, first 2 shown]
	v_pk_add_f16 v4, v4, v6
	s_delay_alu instid0(VALU_DEP_3) | instskip(SKIP_1) | instid1(VALU_DEP_1)
	v_pack_b32_f16 v1, v0, v1
	v_add_f16_e32 v0, v11, v122
	v_pack_b32_f16 v0, v0, v78
	v_mul_f16_e32 v78, 0x38b4, v3
	v_sub_f16_e32 v3, v70, v119
	v_fmamk_f16 v70, v13, 0x3b9c, v68
	v_fmac_f16_e32 v68, 0xbb9c, v13
	v_pk_add_f16 v13, v23, v4 neg_lo:[0,1] neg_hi:[0,1]
	v_fmac_f16_e32 v78, 0x3a79, v2
	v_sub_f16_e32 v2, v11, v122
	v_fmamk_f16 v11, v66, 0xbb9c, v67
	v_fmac_f16_e32 v67, 0x3b9c, v66
	v_fmac_f16_e32 v70, 0x38b4, v12
	;; [unrolled: 1-line block ×3, first 2 shown]
	v_pack_b32_f16 v3, v2, v3
	v_fmac_f16_e32 v11, 0xb8b4, v10
	v_fmac_f16_e32 v67, 0x38b4, v10
	;; [unrolled: 1-line block ×4, first 2 shown]
	v_mul_f16_e32 v16, 0xb8b4, v117
	v_fmac_f16_e32 v11, 0x34f2, v17
	v_fmac_f16_e32 v67, 0x34f2, v17
	v_mul_f16_e32 v17, 0xba79, v117
	v_add_f16_e32 v10, v70, v78
	v_fmac_f16_e32 v16, 0xba79, v72
	v_sub_f16_e32 v2, v11, v74
	v_add_f16_e32 v11, v11, v74
	v_fmac_f16_e32 v17, 0x38b4, v72
	v_sub_f16_e32 v79, v70, v78
	v_sub_f16_e32 v66, v7, v19
	v_lshrrev_b32_e32 v70, 16, v9
	v_pack_b32_f16 v11, v11, v10
	v_pk_add_f16 v10, v23, v4
	v_add_f16_e32 v4, v67, v16
	v_add_f16_e32 v6, v68, v17
	v_pack_b32_f16 v2, v2, v79
	s_delay_alu instid0(VALU_DEP_2)
	v_pack_b32_f16 v12, v4, v6
	ds_store_2addr_b64 v170, v[10:11], v[0:1] offset1:1
	ds_store_2addr_b64 v170, v[12:13], v[2:3] offset0:2 offset1:3
	v_sub_f16_e32 v0, v22, v121
	v_sub_f16_e32 v1, v67, v16
	;; [unrolled: 1-line block ×6, first 2 shown]
	v_add_f16_e32 v13, v75, v69
	v_pack_b32_f16 v1, v1, v2
	v_pack_b32_f16 v0, v0, v3
	v_lshrrev_b32_e32 v2, 16, v71
	v_lshrrev_b32_e32 v12, 16, v75
	;; [unrolled: 1-line block ×4, first 2 shown]
	ds_store_b64 v170, v[0:1] offset:32
	v_pk_add_f16 v0, v73, v75
	v_add_f16_e32 v1, v77, v71
	v_sub_f16_e32 v18, v12, v17
	v_sub_f16_e32 v6, v77, v71
	;; [unrolled: 1-line block ×3, first 2 shown]
	v_pk_add_f16 v0, v0, v77
	v_fma_f16 v20, -0.5, v1, v73
	v_sub_f16_e32 v1, v2, v17
	v_sub_f16_e32 v67, v19, v7
	v_lshrrev_b32_e32 v68, 16, v5
	v_pk_add_f16 v0, v0, v71
	v_add_f16_e32 v71, v9, v7
	v_sub_f16_e32 v10, v75, v77
	s_delay_alu instid0(VALU_DEP_3)
	v_pk_add_f16 v16, v0, v69
	v_add_f16_e32 v0, v11, v4
	v_fma_f16 v11, -0.5, v13, v73
	v_sub_f16_e32 v4, v8, v2
	v_sub_f16_e32 v69, v9, v5
	v_add_f16_e32 v10, v10, v3
	s_delay_alu instid0(VALU_DEP_3) | instskip(SKIP_1) | instid1(VALU_DEP_2)
	v_fmamk_f16 v13, v4, 0x3b9c, v11
	v_fmac_f16_e32 v11, 0xbb9c, v4
	v_fmac_f16_e32 v13, 0xb8b4, v18
	s_delay_alu instid0(VALU_DEP_2) | instskip(NEXT) | instid1(VALU_DEP_2)
	v_fmac_f16_e32 v11, 0x38b4, v18
	v_fmac_f16_e32 v13, 0x34f2, v0
	s_delay_alu instid0(VALU_DEP_2) | instskip(SKIP_2) | instid1(VALU_DEP_2)
	v_fmac_f16_e32 v11, 0x34f2, v0
	v_add_f16_e32 v0, v8, v2
	v_sub_f16_e32 v2, v17, v2
	v_fma_f16 v22, -0.5, v0, v21
	v_add_f16_e32 v0, v12, v17
	v_add_f16_e32 v17, v69, v66
	s_delay_alu instid0(VALU_DEP_2) | instskip(SKIP_3) | instid1(VALU_DEP_4)
	v_fmac_f16_e32 v21, -0.5, v0
	v_sub_f16_e32 v0, v8, v12
	v_sub_f16_e32 v8, v12, v8
	;; [unrolled: 1-line block ×3, first 2 shown]
	v_fmamk_f16 v23, v6, 0xbb9c, v21
	v_fmac_f16_e32 v21, 0x3b9c, v6
	v_add_f16_e32 v0, v0, v1
	v_add_f16_e32 v1, v5, v19
	;; [unrolled: 1-line block ×3, first 2 shown]
	v_fmac_f16_e32 v23, 0x38b4, v14
	v_fmac_f16_e32 v21, 0xb8b4, v14
	s_delay_alu instid0(VALU_DEP_4) | instskip(SKIP_1) | instid1(VALU_DEP_4)
	v_fma_f16 v74, -0.5, v1, v15
	v_add_f16_e32 v1, v68, v65
	v_fmac_f16_e32 v23, 0x34f2, v0
	s_delay_alu instid0(VALU_DEP_4) | instskip(SKIP_1) | instid1(VALU_DEP_1)
	v_fmac_f16_e32 v21, 0x34f2, v0
	v_pk_add_f16 v0, v15, v9
	v_pk_add_f16 v0, v0, v5
	s_delay_alu instid0(VALU_DEP_1) | instskip(SKIP_3) | instid1(VALU_DEP_4)
	v_pk_add_f16 v0, v0, v19
	v_sub_f16_e32 v19, v5, v19
	v_sub_f16_e32 v5, v5, v9
	;; [unrolled: 1-line block ×3, first 2 shown]
	v_pk_add_f16 v72, v0, v7
	v_lshrrev_b32_e32 v7, 16, v7
	s_delay_alu instid0(VALU_DEP_4) | instskip(SKIP_2) | instid1(VALU_DEP_4)
	v_add_f16_e32 v0, v5, v67
	v_fma_f16 v5, -0.5, v71, v15
	v_sub_f16_e32 v67, v68, v65
	v_sub_f16_e32 v73, v70, v7
	;; [unrolled: 1-line block ×3, first 2 shown]
	s_delay_alu instid0(VALU_DEP_3) | instskip(SKIP_1) | instid1(VALU_DEP_4)
	v_fmamk_f16 v71, v67, 0x3b9c, v5
	v_fmac_f16_e32 v5, 0xbb9c, v67
	v_fmamk_f16 v3, v73, 0xbb9c, v74
	v_fmac_f16_e32 v74, 0x3b9c, v73
	s_delay_alu instid0(VALU_DEP_4) | instskip(NEXT) | instid1(VALU_DEP_4)
	v_fmac_f16_e32 v71, 0xb8b4, v73
	v_fmac_f16_e32 v5, 0x38b4, v73
	s_delay_alu instid0(VALU_DEP_4) | instskip(NEXT) | instid1(VALU_DEP_4)
	v_fmac_f16_e32 v3, 0xb8b4, v67
	;; [unrolled: 3-line block ×3, first 2 shown]
	v_fmac_f16_e32 v5, 0x34f2, v0
	v_lshrrev_b32_e32 v0, 16, v15
	v_fmac_f16_e32 v3, 0x34f2, v17
	v_fmac_f16_e32 v74, 0x34f2, v17
	s_delay_alu instid0(VALU_DEP_3) | instskip(SKIP_3) | instid1(VALU_DEP_4)
	v_fma_f16 v15, -0.5, v1, v0
	v_add_f16_e32 v1, v70, v7
	v_sub_f16_e32 v7, v7, v65
	v_mul_f16_e32 v65, 0x38b4, v3
	v_fmamk_f16 v2, v9, 0x3b9c, v15
	s_delay_alu instid0(VALU_DEP_4) | instskip(SKIP_4) | instid1(VALU_DEP_4)
	v_fmac_f16_e32 v0, -0.5, v1
	v_sub_f16_e32 v1, v68, v70
	v_add_f16_e32 v7, v12, v7
	v_fmac_f16_e32 v15, 0xbb9c, v9
	v_fmac_f16_e32 v2, 0x38b4, v19
	v_add_f16_e32 v1, v1, v75
	v_fmamk_f16 v75, v19, 0xbb9c, v0
	v_fmac_f16_e32 v0, 0x3b9c, v19
	s_delay_alu instid0(VALU_DEP_4) | instskip(SKIP_1) | instid1(VALU_DEP_4)
	v_fmac_f16_e32 v2, 0x34f2, v7
	v_fmac_f16_e32 v15, 0xb8b4, v19
	;; [unrolled: 1-line block ×3, first 2 shown]
	s_delay_alu instid0(VALU_DEP_4) | instskip(NEXT) | instid1(VALU_DEP_4)
	v_fmac_f16_e32 v0, 0xb8b4, v9
	v_mul_f16_e32 v12, 0xb8b4, v2
	v_fmac_f16_e32 v65, 0x3a79, v2
	v_fmac_f16_e32 v15, 0x34f2, v7
	v_fmac_f16_e32 v75, 0x34f2, v1
	v_fmac_f16_e32 v0, 0x34f2, v1
	v_fmac_f16_e32 v12, 0x3a79, v3
	v_pk_add_f16 v7, v16, v72 neg_lo:[0,1] neg_hi:[0,1]
	v_mul_f16_e32 v9, 0xba79, v15
	s_delay_alu instid0(VALU_DEP_4) | instskip(SKIP_1) | instid1(VALU_DEP_3)
	v_mul_f16_e32 v76, 0xbb9c, v0
	v_mul_f16_e32 v77, 0xb4f2, v0
	v_fmac_f16_e32 v9, 0x38b4, v74
	s_delay_alu instid0(VALU_DEP_3) | instskip(NEXT) | instid1(VALU_DEP_3)
	v_fmac_f16_e32 v76, 0xb4f2, v5
	v_fmac_f16_e32 v77, 0x3b9c, v5
	v_mul_f16_e32 v5, 0xbb9c, v75
	v_mul_f16_e32 v75, 0x34f2, v75
	s_delay_alu instid0(VALU_DEP_4) | instskip(NEXT) | instid1(VALU_DEP_4)
	v_add_f16_e32 v0, v11, v76
	v_add_f16_e32 v1, v21, v77
	s_delay_alu instid0(VALU_DEP_4) | instskip(NEXT) | instid1(VALU_DEP_4)
	v_fmac_f16_e32 v5, 0x34f2, v71
	v_fmac_f16_e32 v75, 0x3b9c, v71
	s_delay_alu instid0(VALU_DEP_3) | instskip(NEXT) | instid1(VALU_DEP_3)
	v_pack_b32_f16 v1, v0, v1
	v_add_f16_e32 v0, v13, v5
	v_sub_f16_e32 v2, v13, v5
	v_fmamk_f16 v13, v14, 0x3b9c, v22
	v_fmac_f16_e32 v22, 0xbb9c, v14
	v_fmamk_f16 v5, v18, 0xbb9c, v20
	v_fmac_f16_e32 v20, 0x3b9c, v18
	v_sub_f16_e32 v3, v23, v75
	v_fmac_f16_e32 v13, 0x38b4, v6
	v_fmac_f16_e32 v22, 0xb8b4, v6
	v_fmac_f16_e32 v5, 0xb8b4, v4
	v_fmac_f16_e32 v20, 0x38b4, v4
	v_add_f16_e32 v71, v23, v75
	v_fmac_f16_e32 v13, 0x34f2, v8
	v_fmac_f16_e32 v22, 0x34f2, v8
	v_mul_f16_e32 v8, 0xb8b4, v15
	v_fmac_f16_e32 v5, 0x34f2, v10
	v_fmac_f16_e32 v20, 0x34f2, v10
	v_pack_b32_f16 v3, v2, v3
	v_add_f16_e32 v4, v13, v65
	v_fmac_f16_e32 v8, 0xba79, v74
	v_sub_f16_e32 v2, v5, v12
	v_add_f16_e32 v5, v5, v12
	v_sub_f16_e32 v23, v13, v65
	v_add_f16_e32 v10, v22, v9
	v_add_f16_e32 v6, v20, v8
	v_pack_b32_f16 v0, v0, v71
	v_pack_b32_f16 v5, v5, v4
	v_pk_add_f16 v4, v16, v72
	v_pack_b32_f16 v2, v2, v23
	v_pack_b32_f16 v6, v6, v10
	ds_store_2addr_b64 v169, v[4:5], v[0:1] offset1:1
	ds_store_2addr_b64 v169, v[6:7], v[2:3] offset0:2 offset1:3
	v_sub_f16_e32 v0, v11, v76
	v_sub_f16_e32 v1, v20, v8
	;; [unrolled: 1-line block ×4, first 2 shown]
	s_delay_alu instid0(VALU_DEP_2) | instskip(NEXT) | instid1(VALU_DEP_2)
	v_pack_b32_f16 v1, v1, v2
	v_pack_b32_f16 v0, v0, v3
	ds_store_b64 v169, v[0:1] offset:32
	s_waitcnt lgkmcnt(0)
	s_barrier
	buffer_gl0_inv
	ds_load_2addr_b32 v[65:66], v154 offset0:112 offset1:232
	s_waitcnt lgkmcnt(0)
	v_lshrrev_b32_e32 v0, 16, v66
	v_mul_f16_e64 v1, v244, v66
	s_delay_alu instid0(VALU_DEP_2) | instskip(NEXT) | instid1(VALU_DEP_2)
	v_mul_f16_e64 v72, v244, v0
	v_fma_f16 v73, v32, v0, -v1
	ds_load_2addr_b32 v[0:1], v131 offset0:80 offset1:200
	v_fmac_f16_e32 v72, v32, v66
	s_waitcnt lgkmcnt(0)
	v_lshrrev_b32_e32 v2, 16, v0
	v_mul_f16_e64 v3, v254, v0
	s_delay_alu instid0(VALU_DEP_2) | instskip(NEXT) | instid1(VALU_DEP_2)
	v_mul_f16_e64 v77, v254, v2
	v_fma_f16 v76, v33, v2, -v3
	ds_load_2addr_b32 v[2:3], v153 offset0:64 offset1:184
	v_fmac_f16_e32 v77, v33, v0
	s_waitcnt lgkmcnt(0)
	v_lshrrev_b32_e32 v4, 16, v3
	v_mul_f16_e64 v5, v241, v3
	s_delay_alu instid0(VALU_DEP_2) | instskip(NEXT) | instid1(VALU_DEP_2)
	v_mul_f16_e64 v75, v241, v4
	v_fma_f16 v74, v34, v4, -v5
	ds_load_2addr_b32 v[4:5], v187 offset0:32 offset1:152
	v_fmac_f16_e32 v75, v34, v3
	v_lshrrev_b32_e32 v3, 16, v1
	s_delay_alu instid0(VALU_DEP_1) | instskip(NEXT) | instid1(VALU_DEP_1)
	v_mul_f16_e64 v68, v245, v3
	v_fmac_f16_e32 v68, v41, v1
	s_waitcnt lgkmcnt(0)
	v_lshrrev_b32_e32 v6, 16, v4
	v_mul_f16_e64 v7, v255, v4
	s_delay_alu instid0(VALU_DEP_2) | instskip(NEXT) | instid1(VALU_DEP_2)
	v_mul_f16_e64 v241, v255, v6
	v_fma_f16 v170, v35, v6, -v7
	v_lshrrev_b32_e32 v6, 16, v5
	s_delay_alu instid0(VALU_DEP_3)
	v_fmac_f16_e64 v241, v35, v4
	v_mul_f16_e64 v4, v245, v1
	ds_load_2addr_b32 v[0:1], v115 offset0:96 offset1:216
	v_mul_f16_e64 v69, v248, v6
	v_fma_f16 v41, v41, v3, -v4
	ds_load_2addr_b32 v[3:4], v110 offset0:48 offset1:168
	v_fmac_f16_e32 v69, v43, v5
	v_mul_f16_e64 v5, v248, v5
	s_delay_alu instid0(VALU_DEP_1) | instskip(SKIP_3) | instid1(VALU_DEP_2)
	v_fma_f16 v43, v43, v6, -v5
	s_waitcnt lgkmcnt(1)
	v_lshrrev_b32_e32 v7, 16, v0
	v_mul_f16_e64 v8, v237, v0
	v_mul_f16_e64 v66, v237, v7
	s_waitcnt lgkmcnt(0)
	v_lshrrev_b32_e32 v6, 16, v4
	s_delay_alu instid0(VALU_DEP_3)
	v_fma_f16 v67, v40, v7, -v8
	v_lshrrev_b32_e32 v7, 16, v3
	v_mul_f16_e64 v8, v239, v3
	v_fmac_f16_e32 v66, v40, v0
	v_lshrrev_b32_e32 v0, 16, v1
	v_mul_f16_e64 v34, v207, v6
	v_mul_f16_e64 v71, v239, v7
	v_fma_f16 v70, v42, v7, -v8
	v_mul_f16_e64 v7, v207, v4
	v_mul_f16_e64 v32, v206, v0
	v_fmac_f16_e32 v34, v97, v4
	v_fmac_f16_e32 v71, v42, v3
	v_lshrrev_b32_e32 v3, 16, v2
	v_fma_f16 v35, v97, v6, -v7
	v_fmac_f16_e32 v32, v95, v1
	v_mul_f16_e64 v1, v206, v1
	s_delay_alu instid0(VALU_DEP_4) | instskip(NEXT) | instid1(VALU_DEP_2)
	v_mul_f16_e64 v33, v167, v3
	v_fma_f16 v4, v95, v0, -v1
	ds_load_2addr_b32 v[0:1], v142 offset0:16 offset1:136
	v_fmac_f16_e32 v33, v96, v2
	v_mul_f16_e64 v2, v167, v2
	s_delay_alu instid0(VALU_DEP_1) | instskip(SKIP_3) | instid1(VALU_DEP_2)
	v_fma_f16 v5, v96, v3, -v2
	s_waitcnt lgkmcnt(0)
	v_lshrrev_b32_e32 v2, 16, v0
	v_mul_f16_e64 v3, v165, v0
	v_mul_f16_e64 v40, v165, v2
	s_delay_alu instid0(VALU_DEP_2) | instskip(SKIP_1) | instid1(VALU_DEP_3)
	v_fma_f16 v6, v98, v2, -v3
	v_mul_f16_e64 v2, v221, v1
	v_fmac_f16_e32 v40, v98, v0
	v_lshrrev_b32_e32 v0, 16, v1
	s_delay_alu instid0(VALU_DEP_1) | instskip(NEXT) | instid1(VALU_DEP_4)
	v_mul_f16_e64 v237, v221, v0
	v_fma_f16 v207, v87, v0, -v2
	s_delay_alu instid0(VALU_DEP_2) | instskip(SKIP_4) | instid1(VALU_DEP_2)
	v_fmac_f16_e64 v237, v87, v1
	ds_load_2addr_b32 v[0:1], v148 offset0:112 offset1:232
	s_waitcnt lgkmcnt(0)
	v_lshrrev_b32_e32 v2, 16, v0
	v_mul_f16_e64 v3, v231, v0
	v_mul_f16_e64 v239, v231, v2
	s_delay_alu instid0(VALU_DEP_2)
	v_fma_f16 v231, v88, v2, -v3
	ds_load_2addr_b32 v[2:3], v145 offset0:96 offset1:216
	v_fmac_f16_e64 v239, v88, v0
	v_sub_f16_e64 v14, v170, v231
	s_waitcnt lgkmcnt(0)
	v_lshrrev_b32_e32 v7, 16, v3
	v_mul_f16_e64 v8, v220, v3
	s_delay_alu instid0(VALU_DEP_2) | instskip(NEXT) | instid1(VALU_DEP_2)
	v_mul_f16_e64 v221, v220, v7
	v_fma_f16 v220, v89, v7, -v8
	ds_load_2addr_b32 v[7:8], v192 offset0:64 offset1:184
	v_fmac_f16_e64 v221, v89, v3
	v_lshrrev_b32_e32 v3, 16, v1
	s_delay_alu instid0(VALU_DEP_1) | instskip(NEXT) | instid1(VALU_DEP_1)
	v_mul_f16_e64 v161, v225, v3
	v_fmac_f16_e64 v161, v84, v1
	s_waitcnt lgkmcnt(0)
	v_lshrrev_b32_e32 v9, 16, v7
	v_mul_f16_e64 v10, v233, v7
	s_delay_alu instid0(VALU_DEP_2) | instskip(NEXT) | instid1(VALU_DEP_2)
	v_mul_f16_e64 v244, v233, v9
	v_fma_f16 v233, v90, v9, -v10
	v_lshrrev_b32_e32 v9, 16, v8
	v_mul_f16_e64 v10, v232, v8
	s_delay_alu instid0(VALU_DEP_4)
	v_fmac_f16_e64 v244, v90, v7
	v_mul_f16_e64 v7, v225, v1
	ds_load_2addr_b32 v[0:1], v139 offset0:128 offset1:248
	v_mul_f16_e64 v169, v232, v9
	v_fma_f16 v23, v86, v9, -v10
	v_sub_f16_e64 v12, v76, v233
	v_fma_f16 v42, v84, v3, -v7
	v_sub_f16_e64 v87, v231, v233
	v_fmac_f16_e64 v169, v86, v8
	s_delay_alu instid0(VALU_DEP_3) | instskip(SKIP_3) | instid1(VALU_DEP_2)
	v_sub_f16_e32 v88, v23, v42
	s_waitcnt lgkmcnt(0)
	v_lshrrev_b32_e32 v8, 16, v0
	v_mul_f16_e64 v11, v222, v0
	v_mul_f16_e64 v167, v222, v8
	s_delay_alu instid0(VALU_DEP_2)
	v_fma_f16 v78, v83, v8, -v11
	ds_load_2addr_b32 v[7:8], v105 offset0:80 offset1:200
	v_sub_f16_e64 v222, v237, v221
	v_fmac_f16_e64 v167, v83, v0
	v_lshrrev_b32_e32 v0, 16, v1
	v_sub_f16_e64 v83, v77, v244
	s_delay_alu instid0(VALU_DEP_2) | instskip(NEXT) | instid1(VALU_DEP_1)
	v_mul_f16_e64 v16, v202, v0
	v_fmac_f16_e32 v16, v101, v1
	v_mul_f16_e64 v1, v202, v1
	s_waitcnt lgkmcnt(0)
	v_lshrrev_b32_e32 v3, 16, v7
	v_mul_f16_e64 v11, v224, v7
	s_delay_alu instid0(VALU_DEP_3)
	v_fma_f16 v18, v101, v0, -v1
	ds_load_2addr_b32 v[0:1], v134 offset0:48 offset1:168
	v_lshrrev_b32_e32 v9, 16, v8
	v_mul_f16_e64 v206, v224, v3
	v_fma_f16 v165, v85, v3, -v11
	v_lshrrev_b32_e32 v3, 16, v2
	v_mul_f16_e64 v10, v203, v8
	v_mul_f16_e64 v17, v203, v9
	v_fmac_f16_e64 v206, v85, v7
	v_sub_f16_e64 v224, v207, v220
	v_mul_f16_e64 v19, v164, v3
	v_fma_f16 v20, v103, v9, -v10
	v_fmac_f16_e32 v17, v103, v8
	v_add_f16_e32 v10, v72, v75
	v_add_f16_e32 v11, v73, v74
	v_fmac_f16_e32 v19, v102, v2
	v_mul_f16_e64 v2, v164, v2
	v_sub_f16_e64 v85, v241, v239
	v_add_f16_e64 v10, v10, v237
	v_add_f16_e64 v11, v11, v207
	s_delay_alu instid0(VALU_DEP_4)
	v_fma_f16 v7, v102, v3, -v2
	s_waitcnt lgkmcnt(0)
	v_lshrrev_b32_e32 v2, 16, v0
	v_mul_f16_e64 v3, v163, v0
	v_add_f16_e64 v10, v10, v221
	v_add_f16_e64 v11, v11, v220
	s_delay_alu instid0(VALU_DEP_4) | instskip(NEXT) | instid1(VALU_DEP_4)
	v_mul_f16_e64 v21, v163, v2
	v_fma_f16 v2, v104, v2, -v3
	v_mul_f16_e64 v3, v219, v1
	s_delay_alu instid0(VALU_DEP_3) | instskip(SKIP_1) | instid1(VALU_DEP_1)
	v_fmac_f16_e32 v21, v104, v0
	v_lshrrev_b32_e32 v0, 16, v1
	v_mul_f16_e64 v163, v219, v0
	s_delay_alu instid0(VALU_DEP_4) | instskip(SKIP_1) | instid1(VALU_DEP_3)
	v_fma_f16 v22, v217, v0, -v3
	v_sub_f16_e64 v0, v77, v241
	v_fmac_f16_e64 v163, v217, v1
	v_sub_f16_e64 v1, v244, v239
	s_delay_alu instid0(VALU_DEP_4) | instskip(SKIP_1) | instid1(VALU_DEP_4)
	v_sub_f16_e64 v232, v74, v22
	v_add_f16_e32 v81, v11, v22
	v_sub_f16_e64 v225, v75, v163
	s_delay_alu instid0(VALU_DEP_4) | instskip(SKIP_3) | instid1(VALU_DEP_2)
	v_add_f16_e32 v3, v0, v1
	v_sub_f16_e64 v0, v76, v170
	v_sub_f16_e64 v1, v233, v231
	v_add_f16_e64 v80, v10, v163
	v_add_f16_e64 v164, v0, v1
	v_sub_f16_e64 v0, v75, v237
	v_sub_f16_e64 v1, v163, v221
	s_delay_alu instid0(VALU_DEP_1) | instskip(SKIP_2) | instid1(VALU_DEP_1)
	v_add_f16_e64 v202, v0, v1
	v_sub_f16_e64 v0, v74, v207
	v_sub_f16_e64 v1, v22, v220
	v_add_f16_e64 v219, v0, v1
	v_add_f16_e64 v0, v237, v221
	s_delay_alu instid0(VALU_DEP_1) | instskip(SKIP_1) | instid1(VALU_DEP_2)
	v_fma_f16 v203, -0.5, v0, v72
	v_add_f16_e64 v0, v207, v220
	v_fma_f16 v1, 0xbb9c, v232, v203
	s_delay_alu instid0(VALU_DEP_2) | instskip(SKIP_1) | instid1(VALU_DEP_3)
	v_fma_f16 v217, -0.5, v0, v73
	v_fmac_f16_e64 v203, 0x3b9c, v232
	v_fmac_f16_e64 v1, 0xb8b4, v224
	s_delay_alu instid0(VALU_DEP_3) | instskip(SKIP_1) | instid1(VALU_DEP_4)
	v_fma_f16 v0, 0x3b9c, v225, v217
	v_fmac_f16_e64 v217, 0xbb9c, v225
	v_fmac_f16_e64 v203, 0x38b4, v224
	s_delay_alu instid0(VALU_DEP_4) | instskip(NEXT) | instid1(VALU_DEP_4)
	v_fmac_f16_e64 v1, 0x34f2, v202
	v_fmac_f16_e64 v0, 0x38b4, v222
	s_delay_alu instid0(VALU_DEP_4) | instskip(NEXT) | instid1(VALU_DEP_4)
	v_fmac_f16_e64 v217, 0xb8b4, v222
	v_fmac_f16_e64 v203, 0x34f2, v202
	s_delay_alu instid0(VALU_DEP_3) | instskip(NEXT) | instid1(VALU_DEP_3)
	v_fmac_f16_e64 v0, 0x34f2, v219
	v_fmac_f16_e64 v217, 0x34f2, v219
	s_delay_alu instid0(VALU_DEP_2) | instskip(SKIP_1) | instid1(VALU_DEP_2)
	v_mul_f16_e64 v245, 0xb8b4, v0
	v_mul_f16_e64 v254, 0x3a79, v0
	v_fmac_f16_e64 v245, 0x3a79, v1
	s_delay_alu instid0(VALU_DEP_2) | instskip(SKIP_4) | instid1(VALU_DEP_2)
	v_fmac_f16_e64 v254, 0x38b4, v1
	ds_load_2addr_b32 v[0:1], v135 offset1:120
	s_waitcnt lgkmcnt(0)
	v_lshrrev_b32_e32 v248, 16, v0
	v_add_f16_e32 v8, v0, v77
	v_add_f16_e64 v9, v248, v76
	s_delay_alu instid0(VALU_DEP_2) | instskip(NEXT) | instid1(VALU_DEP_2)
	v_add_f16_e64 v8, v8, v241
	v_add_f16_e64 v9, v9, v170
	s_delay_alu instid0(VALU_DEP_2) | instskip(NEXT) | instid1(VALU_DEP_2)
	v_add_f16_e64 v8, v8, v239
	v_add_f16_e64 v9, v9, v231
	s_delay_alu instid0(VALU_DEP_2) | instskip(NEXT) | instid1(VALU_DEP_2)
	v_add_f16_e64 v255, v8, v244
	v_add_f16_e64 v79, v9, v233
	s_delay_alu instid0(VALU_DEP_2) | instskip(NEXT) | instid1(VALU_DEP_2)
	v_add_f16_e64 v8, v255, v80
	v_add_f16_e32 v9, v79, v81
	s_delay_alu instid0(VALU_DEP_1) | instskip(SKIP_1) | instid1(VALU_DEP_1)
	v_pack_b32_f16 v10, v8, v9
	v_add_f16_e64 v8, v241, v239
	v_fma_f16 v11, -0.5, v8, v0
	v_add_f16_e64 v8, v170, v231
	s_delay_alu instid0(VALU_DEP_2) | instskip(NEXT) | instid1(VALU_DEP_2)
	v_fmamk_f16 v13, v12, 0xbb9c, v11
	v_fma_f16 v15, -0.5, v8, v248
	v_fmac_f16_e32 v11, 0x3b9c, v12
	s_delay_alu instid0(VALU_DEP_3) | instskip(NEXT) | instid1(VALU_DEP_3)
	v_fmac_f16_e32 v13, 0xb8b4, v14
	v_fmamk_f16 v84, v83, 0x3b9c, v15
	v_fmac_f16_e32 v15, 0xbb9c, v83
	s_delay_alu instid0(VALU_DEP_4) | instskip(NEXT) | instid1(VALU_DEP_4)
	v_fmac_f16_e32 v11, 0x38b4, v14
	v_fmac_f16_e32 v13, 0x34f2, v3
	s_delay_alu instid0(VALU_DEP_4) | instskip(NEXT) | instid1(VALU_DEP_4)
	v_fmac_f16_e32 v84, 0x38b4, v85
	v_fmac_f16_e32 v15, 0xb8b4, v85
	s_delay_alu instid0(VALU_DEP_4)
	v_fmac_f16_e32 v11, 0x34f2, v3
	v_mul_f16_e64 v3, 0xb8b4, v217
	v_add_f16_e64 v8, v13, v245
	v_fmac_f16_e64 v84, 0x34f2, v164
	v_fmac_f16_e64 v15, 0x34f2, v164
	v_sub_f16_e64 v13, v13, v245
	v_fmac_f16_e64 v3, 0xba79, v203
	s_delay_alu instid0(VALU_DEP_4) | instskip(NEXT) | instid1(VALU_DEP_1)
	v_add_f16_e64 v9, v84, v254
	v_pack_b32_f16 v86, v8, v9
	ds_load_2addr_b32 v[8:9], v125 offset0:32 offset1:152
	s_waitcnt lgkmcnt(0)
	s_barrier
	buffer_gl0_inv
	ds_store_2addr_b32 v172, v10, v86 offset1:10
	v_sub_f16_e64 v10, v241, v77
	v_add_f16_e64 v77, v77, v244
	v_sub_f16_e64 v86, v239, v244
	s_delay_alu instid0(VALU_DEP_2) | instskip(NEXT) | instid1(VALU_DEP_2)
	v_fma_f16 v0, -0.5, v77, v0
	v_add_f16_e32 v10, v10, v86
	v_sub_f16_e64 v86, v170, v76
	v_add_f16_e64 v76, v76, v233
	s_delay_alu instid0(VALU_DEP_4) | instskip(SKIP_2) | instid1(VALU_DEP_4)
	v_fmamk_f16 v77, v14, 0x3b9c, v0
	v_fmac_f16_e32 v0, 0xbb9c, v14
	v_sub_f16_e64 v14, v255, v80
	v_fmac_f16_e64 v248, -0.5, v76
	v_sub_f16_e64 v76, v237, v75
	v_fmac_f16_e32 v77, 0xb8b4, v12
	v_fmac_f16_e32 v0, 0x38b4, v12
	v_add_f16_e64 v75, v75, v163
	v_mul_f16_e64 v12, 0xba79, v217
	v_sub_f16_e64 v80, v167, v206
	v_fmac_f16_e32 v77, 0x34f2, v10
	v_fmac_f16_e32 v0, 0x34f2, v10
	v_add_f16_e32 v10, v86, v87
	v_fma_f16 v87, 0xbb9c, v85, v248
	v_fmac_f16_e64 v248, 0x3b9c, v85
	v_fmac_f16_e32 v72, -0.5, v75
	v_add_f16_e32 v75, v74, v22
	v_sub_f16_e64 v86, v221, v163
	v_fmac_f16_e32 v87, 0x38b4, v83
	v_fmac_f16_e64 v248, 0xb8b4, v83
	v_sub_f16_e64 v74, v207, v74
	v_fmac_f16_e32 v73, -0.5, v75
	v_fma_f16 v75, 0x3b9c, v224, v72
	v_fmac_f16_e64 v72, 0xbb9c, v224
	v_fmac_f16_e32 v87, 0x34f2, v10
	v_fmac_f16_e64 v248, 0x34f2, v10
	v_add_f16_e32 v10, v76, v86
	v_sub_f16_e64 v22, v220, v22
	v_fmac_f16_e64 v75, 0xb8b4, v232
	v_fmac_f16_e64 v72, 0x38b4, v232
	;; [unrolled: 1-line block ×3, first 2 shown]
	s_delay_alu instid0(VALU_DEP_3) | instskip(NEXT) | instid1(VALU_DEP_3)
	v_fmac_f16_e32 v75, 0x34f2, v10
	v_fmac_f16_e32 v72, 0x34f2, v10
	v_add_f16_e32 v10, v74, v22
	v_fma_f16 v22, 0xbb9c, v222, v73
	v_fmac_f16_e64 v73, 0x3b9c, v222
	s_delay_alu instid0(VALU_DEP_2) | instskip(NEXT) | instid1(VALU_DEP_2)
	v_fmac_f16_e64 v22, 0x38b4, v225
	v_fmac_f16_e64 v73, 0xb8b4, v225
	s_delay_alu instid0(VALU_DEP_2) | instskip(NEXT) | instid1(VALU_DEP_2)
	v_fmac_f16_e32 v22, 0x34f2, v10
	v_fmac_f16_e32 v73, 0x34f2, v10
	s_delay_alu instid0(VALU_DEP_2) | instskip(SKIP_1) | instid1(VALU_DEP_3)
	v_mul_f16_e32 v10, 0xbb9c, v22
	v_mul_f16_e32 v22, 0x34f2, v22
	;; [unrolled: 1-line block ×4, first 2 shown]
	s_delay_alu instid0(VALU_DEP_4) | instskip(NEXT) | instid1(VALU_DEP_4)
	v_fmac_f16_e32 v10, 0x34f2, v75
	v_fmac_f16_e32 v22, 0x3b9c, v75
	s_delay_alu instid0(VALU_DEP_4) | instskip(NEXT) | instid1(VALU_DEP_4)
	v_fmac_f16_e32 v74, 0xb4f2, v72
	v_fmac_f16_e32 v73, 0x3b9c, v72
	s_delay_alu instid0(VALU_DEP_4) | instskip(NEXT) | instid1(VALU_DEP_4)
	v_add_f16_e32 v72, v77, v10
	v_add_f16_e32 v75, v87, v22
	v_sub_f16_e32 v10, v77, v10
	s_delay_alu instid0(VALU_DEP_4)
	v_add_f16_e64 v76, v248, v73
	v_sub_f16_e32 v22, v87, v22
	v_sub_f16_e64 v77, v78, v165
	v_pack_b32_f16 v72, v72, v75
	v_add_f16_e32 v75, v0, v74
	v_sub_f16_e32 v0, v0, v74
	v_pack_b32_f16 v10, v10, v22
	v_sub_f16_e64 v87, v169, v161
	s_delay_alu instid0(VALU_DEP_4)
	v_pack_b32_f16 v75, v75, v76
	v_add_f16_e32 v76, v15, v12
	ds_store_2addr_b32 v172, v72, v75 offset0:20 offset1:30
	v_sub_f16_e32 v72, v79, v81
	v_add_f16_e32 v75, v11, v3
	v_sub_f16_e32 v3, v11, v3
	v_sub_f16_e32 v11, v15, v12
	v_add_f16_e32 v12, v1, v68
	v_pack_b32_f16 v14, v14, v72
	v_pack_b32_f16 v75, v75, v76
	v_add_f16_e32 v15, v66, v71
	v_pack_b32_f16 v3, v3, v11
	v_lshrrev_b32_e32 v11, 16, v1
	v_sub_f16_e32 v76, v41, v23
	ds_store_2addr_b32 v172, v75, v14 offset0:40 offset1:50
	v_sub_f16_e64 v14, v84, v254
	v_add_f16_e64 v15, v15, v167
	v_add_f16_e32 v12, v12, v69
	s_delay_alu instid0(VALU_DEP_3) | instskip(NEXT) | instid1(VALU_DEP_3)
	v_pack_b32_f16 v13, v13, v14
	v_add_f16_e64 v15, v15, v206
	s_delay_alu instid0(VALU_DEP_3)
	v_add_f16_e64 v12, v12, v161
	ds_store_2addr_b32 v172, v13, v10 offset0:60 offset1:70
	v_sub_f16_e64 v10, v248, v73
	v_sub_f16_e64 v13, v161, v169
	v_add_f16_e32 v73, v67, v70
	v_add_f16_e64 v12, v12, v169
	s_delay_alu instid0(VALU_DEP_4) | instskip(SKIP_3) | instid1(VALU_DEP_2)
	v_pack_b32_f16 v0, v0, v10
	ds_store_2addr_b32 v172, v0, v3 offset0:80 offset1:90
	v_lshrrev_b32_e32 v0, 16, v8
	v_mul_f16_e64 v3, v168, v8
	v_mul_f16_e64 v10, v168, v0
	s_delay_alu instid0(VALU_DEP_2) | instskip(SKIP_1) | instid1(VALU_DEP_3)
	v_fma_f16 v0, v166, v0, -v3
	v_add_f16_e64 v3, v69, v161
	v_fmac_f16_e64 v10, v166, v8
	v_add_f16_e64 v8, v68, v169
	s_delay_alu instid0(VALU_DEP_3)
	v_fma_f16 v3, -0.5, v3, v1
	v_add_f16_e32 v72, v70, v0
	v_sub_f16_e64 v74, v165, v0
	v_add_f16_e32 v14, v71, v10
	v_fmac_f16_e32 v1, -0.5, v8
	v_sub_f16_e32 v8, v69, v68
	v_sub_f16_e64 v22, v206, v10
	v_sub_f16_e32 v83, v71, v10
	v_sub_f16_e32 v84, v70, v0
	v_fmamk_f16 v90, v76, 0xbb9c, v3
	v_add_f16_e32 v8, v8, v13
	v_add_f16_e64 v13, v167, v206
	v_fmac_f16_e32 v3, 0x3b9c, v76
	s_delay_alu instid0(VALU_DEP_2) | instskip(SKIP_3) | instid1(VALU_DEP_3)
	v_fma_f16 v13, -0.5, v13, v66
	v_fmac_f16_e32 v66, -0.5, v14
	v_sub_f16_e64 v14, v167, v71
	v_sub_f16_e64 v71, v71, v167
	v_fmamk_f16 v79, v77, 0x3b9c, v66
	s_delay_alu instid0(VALU_DEP_3) | instskip(SKIP_2) | instid1(VALU_DEP_4)
	v_add_f16_e32 v14, v14, v22
	v_add_f16_e64 v22, v78, v165
	v_fmac_f16_e32 v66, 0xbb9c, v77
	v_fmac_f16_e32 v79, 0xb8b4, v84
	s_delay_alu instid0(VALU_DEP_3)
	v_fma_f16 v22, -0.5, v22, v67
	v_fmac_f16_e32 v67, -0.5, v72
	v_sub_f16_e32 v72, v78, v70
	v_fmac_f16_e32 v66, 0x38b4, v84
	v_sub_f16_e32 v70, v70, v78
	v_fmac_f16_e32 v79, 0x34f2, v14
	v_fmamk_f16 v81, v80, 0xbb9c, v67
	v_fmac_f16_e32 v67, 0x3b9c, v80
	v_add_f16_e32 v72, v72, v74
	v_sub_f16_e32 v74, v43, v42
	v_fmac_f16_e32 v66, 0x34f2, v14
	v_fmac_f16_e32 v81, 0x38b4, v83
	;; [unrolled: 1-line block ×3, first 2 shown]
	s_delay_alu instid0(VALU_DEP_4) | instskip(SKIP_2) | instid1(VALU_DEP_4)
	v_fmamk_f16 v75, v74, 0x3b9c, v1
	v_fmac_f16_e32 v1, 0xbb9c, v74
	v_fmac_f16_e32 v90, 0xb8b4, v74
	;; [unrolled: 1-line block ×7, first 2 shown]
	v_mul_f16_e32 v85, 0xbb9c, v67
	s_delay_alu instid0(VALU_DEP_4) | instskip(NEXT) | instid1(VALU_DEP_4)
	v_fmac_f16_e32 v75, 0x34f2, v8
	v_fmac_f16_e32 v1, 0x34f2, v8
	s_delay_alu instid0(VALU_DEP_4) | instskip(NEXT) | instid1(VALU_DEP_4)
	v_mul_f16_e32 v14, 0x34f2, v81
	v_fmac_f16_e32 v85, 0xb4f2, v66
	s_delay_alu instid0(VALU_DEP_2) | instskip(NEXT) | instid1(VALU_DEP_2)
	v_fmac_f16_e32 v14, 0x3b9c, v79
	v_add_f16_e32 v86, v1, v85
	v_sub_f16_e32 v1, v1, v85
	v_sub_f16_e32 v85, v68, v69
	v_sub_f16_e64 v68, v68, v169
	v_sub_f16_e64 v69, v69, v161
	s_delay_alu instid0(VALU_DEP_3) | instskip(SKIP_1) | instid1(VALU_DEP_2)
	v_add_f16_e32 v85, v85, v87
	v_sub_f16_e32 v87, v41, v43
	v_fmac_f16_e32 v90, 0x34f2, v85
	s_delay_alu instid0(VALU_DEP_2) | instskip(SKIP_3) | instid1(VALU_DEP_3)
	v_add_f16_e32 v87, v87, v88
	v_sub_f16_e64 v88, v10, v206
	v_add_f16_e32 v10, v15, v10
	v_fmac_f16_e32 v3, 0x34f2, v85
	v_add_f16_e32 v15, v71, v88
	v_add_f16_e32 v71, v73, v78
	v_sub_f16_e64 v73, v0, v165
	v_add_f16_e32 v88, v12, v10
	v_sub_f16_e32 v10, v12, v10
	s_delay_alu instid0(VALU_DEP_4) | instskip(NEXT) | instid1(VALU_DEP_4)
	v_add_f16_e64 v71, v71, v165
	v_add_f16_e32 v70, v70, v73
	v_fmamk_f16 v73, v84, 0xbb9c, v13
	v_fmac_f16_e32 v13, 0x3b9c, v84
	s_delay_alu instid0(VALU_DEP_4) | instskip(SKIP_1) | instid1(VALU_DEP_4)
	v_add_f16_e32 v0, v71, v0
	v_fmamk_f16 v71, v83, 0x3b9c, v22
	v_fmac_f16_e32 v73, 0xb8b4, v77
	v_fmac_f16_e32 v22, 0xbb9c, v83
	;; [unrolled: 1-line block ×3, first 2 shown]
	s_delay_alu instid0(VALU_DEP_4) | instskip(NEXT) | instid1(VALU_DEP_4)
	v_fmac_f16_e32 v71, 0x38b4, v80
	v_fmac_f16_e32 v73, 0x34f2, v15
	s_delay_alu instid0(VALU_DEP_4) | instskip(NEXT) | instid1(VALU_DEP_4)
	v_fmac_f16_e32 v22, 0xb8b4, v80
	v_fmac_f16_e32 v13, 0x34f2, v15
	s_delay_alu instid0(VALU_DEP_4) | instskip(NEXT) | instid1(VALU_DEP_3)
	v_fmac_f16_e32 v71, 0x34f2, v70
	v_fmac_f16_e32 v22, 0x34f2, v70
	s_delay_alu instid0(VALU_DEP_2) | instskip(SKIP_1) | instid1(VALU_DEP_3)
	v_mul_f16_e32 v78, 0xb8b4, v71
	v_mul_f16_e32 v71, 0x3a79, v71
	;; [unrolled: 1-line block ×4, first 2 shown]
	s_delay_alu instid0(VALU_DEP_4) | instskip(NEXT) | instid1(VALU_DEP_4)
	v_fmac_f16_e32 v78, 0x3a79, v73
	v_fmac_f16_e32 v71, 0x38b4, v73
	v_add_f16_e32 v73, v11, v41
	v_fmac_f16_e32 v15, 0xba79, v13
	v_fmac_f16_e32 v22, 0x38b4, v13
	v_add_f16_e32 v96, v90, v78
	s_delay_alu instid0(VALU_DEP_4) | instskip(NEXT) | instid1(VALU_DEP_4)
	v_add_f16_e32 v73, v73, v43
	v_add_f16_e32 v12, v3, v15
	s_delay_alu instid0(VALU_DEP_2) | instskip(NEXT) | instid1(VALU_DEP_1)
	v_add_f16_e32 v73, v73, v42
	v_add_f16_e32 v73, v73, v23
	s_delay_alu instid0(VALU_DEP_1) | instskip(SKIP_2) | instid1(VALU_DEP_3)
	v_add_f16_e32 v89, v73, v0
	v_sub_f16_e32 v0, v73, v0
	v_sub_f16_e32 v73, v21, v19
	v_pack_b32_f16 v88, v88, v89
	v_add_f16_e32 v89, v43, v42
	s_delay_alu instid0(VALU_DEP_4) | instskip(NEXT) | instid1(VALU_DEP_2)
	v_pack_b32_f16 v0, v10, v0
	v_fma_f16 v89, -0.5, v89, v11
	s_delay_alu instid0(VALU_DEP_1) | instskip(SKIP_1) | instid1(VALU_DEP_2)
	v_fmamk_f16 v95, v68, 0x3b9c, v89
	v_fmac_f16_e32 v89, 0xbb9c, v68
	v_fmac_f16_e32 v95, 0x38b4, v69
	s_delay_alu instid0(VALU_DEP_2) | instskip(NEXT) | instid1(VALU_DEP_2)
	v_fmac_f16_e32 v89, 0xb8b4, v69
	v_fmac_f16_e32 v95, 0x34f2, v87
	s_delay_alu instid0(VALU_DEP_2) | instskip(NEXT) | instid1(VALU_DEP_2)
	v_fmac_f16_e32 v89, 0x34f2, v87
	v_add_f16_e32 v97, v95, v71
	s_delay_alu instid0(VALU_DEP_2) | instskip(SKIP_1) | instid1(VALU_DEP_3)
	v_add_f16_e32 v13, v89, v22
	v_sub_f16_e32 v10, v95, v71
	v_pack_b32_f16 v96, v96, v97
	s_delay_alu instid0(VALU_DEP_3)
	v_pack_b32_f16 v12, v12, v13
	v_add_f16_e32 v13, v32, v34
	ds_store_2addr_b32 v171, v88, v96 offset1:10
	v_add_f16_e32 v88, v41, v23
	v_sub_f16_e32 v41, v43, v41
	v_sub_f16_e32 v23, v42, v23
	ds_store_2addr_b32 v171, v12, v0 offset0:40 offset1:50
	v_sub_f16_e32 v0, v90, v78
	v_fmac_f16_e32 v11, -0.5, v88
	v_add_f16_e32 v13, v13, v16
	v_add_f16_e32 v8, v41, v23
	v_mul_f16_e32 v41, 0xb4f2, v67
	v_pack_b32_f16 v0, v0, v10
	v_fmamk_f16 v23, v69, 0xbb9c, v11
	v_fmac_f16_e32 v11, 0x3b9c, v69
	v_add_f16_e32 v10, v65, v33
	v_fmac_f16_e32 v41, 0x3b9c, v66
	v_sub_f16_e32 v67, v16, v17
	v_fmac_f16_e32 v23, 0x38b4, v68
	v_fmac_f16_e32 v11, 0xb8b4, v68
	v_add_f16_e32 v13, v13, v17
	v_add_f16_e32 v10, v10, v40
	s_delay_alu instid0(VALU_DEP_4) | instskip(NEXT) | instid1(VALU_DEP_4)
	v_fmac_f16_e32 v23, 0x34f2, v8
	v_fmac_f16_e32 v11, 0x34f2, v8
	v_mul_f16_e32 v8, 0xbb9c, v81
	s_delay_alu instid0(VALU_DEP_4) | instskip(NEXT) | instid1(VALU_DEP_4)
	v_add_f16_e32 v10, v10, v19
	v_sub_f16_e32 v12, v23, v14
	v_add_f16_e32 v43, v23, v14
	s_delay_alu instid0(VALU_DEP_4) | instskip(NEXT) | instid1(VALU_DEP_4)
	v_fmac_f16_e32 v8, 0x34f2, v79
	v_add_f16_e32 v10, v10, v21
	s_delay_alu instid0(VALU_DEP_2) | instskip(SKIP_1) | instid1(VALU_DEP_2)
	v_add_f16_e32 v42, v75, v8
	v_sub_f16_e32 v8, v75, v8
	v_pack_b32_f16 v42, v42, v43
	s_delay_alu instid0(VALU_DEP_2)
	v_pack_b32_f16 v8, v8, v12
	v_add_f16_e32 v43, v11, v41
	ds_store_2addr_b32 v171, v0, v8 offset0:60 offset1:70
	v_sub_f16_e32 v0, v3, v15
	v_sub_f16_e32 v3, v11, v41
	;; [unrolled: 1-line block ×4, first 2 shown]
	v_add_f16_e32 v22, v4, v35
	v_pack_b32_f16 v43, v86, v43
	v_pack_b32_f16 v1, v1, v3
	;; [unrolled: 1-line block ×3, first 2 shown]
	v_lshrrev_b32_e32 v3, 16, v158
	v_add_f16_e32 v8, v33, v21
	ds_store_2addr_b32 v171, v42, v43 offset0:20 offset1:30
	v_sub_f16_e32 v43, v18, v20
	ds_store_2addr_b32 v171, v1, v0 offset0:80 offset1:90
	v_lshrrev_b32_e32 v0, 16, v9
	v_sub_f16_e32 v42, v5, v2
	v_sub_f16_e32 v21, v33, v21
	s_delay_alu instid0(VALU_DEP_3) | instskip(SKIP_1) | instid1(VALU_DEP_2)
	v_mul_f16_e32 v1, v3, v0
	v_mul_f16_e32 v3, v3, v9
	v_fmac_f16_e64 v1, v158, v9
	s_delay_alu instid0(VALU_DEP_2)
	v_fma_f16 v0, v158, v0, -v3
	v_add_f16_e32 v3, v40, v19
	v_lshrrev_b32_e32 v9, 16, v65
	v_sub_f16_e32 v19, v40, v19
	v_add_f16_e32 v12, v34, v1
	v_sub_f16_e32 v14, v17, v1
	v_fma_f16 v3, -0.5, v3, v65
	v_fmac_f16_e32 v65, -0.5, v8
	v_sub_f16_e32 v8, v40, v33
	v_add_f16_e32 v15, v35, v0
	v_sub_f16_e32 v69, v34, v1
	v_sub_f16_e32 v23, v20, v0
	;; [unrolled: 1-line block ×3, first 2 shown]
	v_add_f16_e32 v8, v8, v11
	v_add_f16_e32 v11, v16, v17
	v_sub_f16_e32 v17, v1, v17
	v_add_f16_e32 v1, v13, v1
	s_delay_alu instid0(VALU_DEP_3) | instskip(SKIP_3) | instid1(VALU_DEP_3)
	v_fma_f16 v11, -0.5, v11, v32
	v_fmac_f16_e32 v32, -0.5, v12
	v_sub_f16_e32 v12, v16, v34
	v_sub_f16_e32 v16, v34, v16
	v_fmamk_f16 v66, v43, 0x3b9c, v32
	s_delay_alu instid0(VALU_DEP_3) | instskip(SKIP_1) | instid1(VALU_DEP_4)
	v_add_f16_e32 v12, v12, v14
	v_add_f16_e32 v14, v18, v20
	;; [unrolled: 1-line block ×4, first 2 shown]
	v_sub_f16_e32 v17, v35, v18
	v_fmac_f16_e32 v32, 0xbb9c, v43
	v_fma_f16 v14, -0.5, v14, v4
	v_fmac_f16_e32 v4, -0.5, v15
	v_sub_f16_e32 v15, v18, v35
	v_add_f16_e32 v16, v16, v20
	v_sub_f16_e32 v18, v0, v20
	v_fmac_f16_e32 v32, 0x38b4, v70
	v_fmamk_f16 v68, v67, 0xbb9c, v4
	v_fmac_f16_e32 v4, 0x3b9c, v67
	v_add_f16_e32 v0, v16, v0
	v_add_f16_e32 v16, v17, v18
	v_fmamk_f16 v17, v69, 0x3b9c, v14
	v_fmamk_f16 v18, v70, 0xbb9c, v11
	v_add_f16_e32 v15, v15, v23
	v_sub_f16_e32 v23, v6, v7
	v_fmac_f16_e32 v4, 0xb8b4, v69
	v_fmac_f16_e32 v17, 0x38b4, v67
	;; [unrolled: 1-line block ×4, first 2 shown]
	v_fmamk_f16 v41, v23, 0x3b9c, v65
	v_fmac_f16_e32 v65, 0xbb9c, v23
	v_fmac_f16_e32 v17, 0x34f2, v16
	v_fmac_f16_e32 v18, 0x34f2, v13
	v_fmac_f16_e32 v4, 0x34f2, v15
	v_add_f16_e32 v22, v10, v1
	v_fmac_f16_e32 v65, 0x38b4, v42
	v_mul_f16_e32 v20, 0xb8b4, v17
	v_mul_f16_e32 v17, 0x3a79, v17
	;; [unrolled: 1-line block ×3, first 2 shown]
	v_fmamk_f16 v35, v42, 0xbb9c, v3
	v_fmac_f16_e32 v65, 0x34f2, v8
	v_fmac_f16_e32 v20, 0x3a79, v18
	v_fmac_f16_e32 v17, 0x38b4, v18
	v_add_f16_e32 v18, v9, v5
	v_fmac_f16_e32 v71, 0xb4f2, v32
	v_fmac_f16_e32 v35, 0xb8b4, v23
	;; [unrolled: 1-line block ×4, first 2 shown]
	v_add_f16_e32 v18, v18, v6
	v_add_f16_e32 v72, v65, v71
	v_sub_f16_e32 v65, v65, v71
	v_sub_f16_e32 v71, v33, v40
	;; [unrolled: 1-line block ×3, first 2 shown]
	v_add_f16_e32 v18, v18, v7
	v_sub_f16_e32 v40, v2, v7
	v_fmac_f16_e32 v68, 0x34f2, v15
	v_add_f16_e32 v71, v71, v73
	v_fmac_f16_e32 v41, 0xb8b4, v42
	v_add_f16_e32 v18, v18, v2
	v_add_f16_e32 v33, v33, v40
	v_fmac_f16_e32 v66, 0x34f2, v12
	v_fmac_f16_e32 v35, 0x34f2, v71
	;; [unrolled: 1-line block ×3, first 2 shown]
	v_add_f16_e32 v34, v18, v0
	v_mul_f16_e32 v4, 0xb4f2, v4
	v_fmac_f16_e32 v14, 0xbb9c, v69
	v_add_f16_e32 v73, v35, v20
	v_fmac_f16_e32 v11, 0x3b9c, v70
	v_pack_b32_f16 v22, v22, v34
	v_add_f16_e32 v34, v6, v7
	v_fmac_f16_e32 v4, 0x3b9c, v32
	v_fmac_f16_e32 v14, 0xb8b4, v67
	;; [unrolled: 1-line block ×4, first 2 shown]
	v_fma_f16 v34, -0.5, v34, v9
	v_sub_f16_e32 v1, v10, v1
	v_fmac_f16_e32 v14, 0x34f2, v16
	v_fmac_f16_e32 v3, 0x38b4, v23
	;; [unrolled: 1-line block ×3, first 2 shown]
	v_fmamk_f16 v40, v21, 0x3b9c, v34
	v_fmac_f16_e32 v34, 0xbb9c, v21
	v_sub_f16_e32 v0, v18, v0
	v_fmac_f16_e32 v3, 0x34f2, v71
	s_delay_alu instid0(VALU_DEP_4) | instskip(NEXT) | instid1(VALU_DEP_4)
	v_fmac_f16_e32 v40, 0x38b4, v19
	v_fmac_f16_e32 v34, 0xb8b4, v19
	s_delay_alu instid0(VALU_DEP_4) | instskip(NEXT) | instid1(VALU_DEP_3)
	v_pack_b32_f16 v0, v1, v0
	v_fmac_f16_e32 v40, 0x34f2, v33
	s_delay_alu instid0(VALU_DEP_3) | instskip(NEXT) | instid1(VALU_DEP_2)
	v_fmac_f16_e32 v34, 0x34f2, v33
	v_add_f16_e32 v74, v40, v17
	s_delay_alu instid0(VALU_DEP_1)
	v_pack_b32_f16 v73, v73, v74
	ds_store_2addr_b32 v190, v22, v73 offset1:10
	v_add_f16_e32 v22, v5, v2
	v_sub_f16_e32 v5, v6, v5
	v_sub_f16_e32 v2, v7, v2
	v_mul_f16_e32 v6, 0x34f2, v68
	s_delay_alu instid0(VALU_DEP_4) | instskip(NEXT) | instid1(VALU_DEP_3)
	v_fmac_f16_e32 v9, -0.5, v22
	v_add_f16_e32 v2, v5, v2
	s_delay_alu instid0(VALU_DEP_3) | instskip(NEXT) | instid1(VALU_DEP_3)
	v_fmac_f16_e32 v6, 0x3b9c, v66
	v_fmamk_f16 v5, v19, 0xbb9c, v9
	v_fmac_f16_e32 v9, 0x3b9c, v19
	s_delay_alu instid0(VALU_DEP_2) | instskip(NEXT) | instid1(VALU_DEP_2)
	v_fmac_f16_e32 v5, 0x38b4, v21
	v_fmac_f16_e32 v9, 0xb8b4, v21
	s_delay_alu instid0(VALU_DEP_2) | instskip(NEXT) | instid1(VALU_DEP_2)
	v_fmac_f16_e32 v5, 0x34f2, v2
	v_fmac_f16_e32 v9, 0x34f2, v2
	v_mul_f16_e32 v2, 0xbb9c, v68
	s_delay_alu instid0(VALU_DEP_3) | instskip(SKIP_1) | instid1(VALU_DEP_3)
	v_add_f16_e32 v8, v5, v6
	v_sub_f16_e32 v5, v5, v6
	v_fmac_f16_e32 v2, 0x34f2, v66
	s_delay_alu instid0(VALU_DEP_1) | instskip(SKIP_2) | instid1(VALU_DEP_3)
	v_add_f16_e32 v7, v41, v2
	v_sub_f16_e32 v1, v41, v2
	v_sub_f16_e32 v2, v40, v17
	v_pack_b32_f16 v7, v7, v8
	v_add_f16_e32 v8, v9, v4
	s_delay_alu instid0(VALU_DEP_4) | instskip(NEXT) | instid1(VALU_DEP_2)
	v_pack_b32_f16 v1, v1, v5
	v_pack_b32_f16 v8, v72, v8
	ds_store_2addr_b32 v190, v7, v8 offset0:20 offset1:30
	v_mul_f16_e32 v7, 0xb8b4, v14
	v_mul_f16_e32 v8, 0xba79, v14
	s_delay_alu instid0(VALU_DEP_2) | instskip(NEXT) | instid1(VALU_DEP_2)
	v_fmac_f16_e32 v7, 0xba79, v11
	v_fmac_f16_e32 v8, 0x38b4, v11
	s_delay_alu instid0(VALU_DEP_2) | instskip(NEXT) | instid1(VALU_DEP_2)
	v_add_f16_e32 v10, v3, v7
	v_add_f16_e32 v11, v34, v8
	s_delay_alu instid0(VALU_DEP_1) | instskip(SKIP_2) | instid1(VALU_DEP_1)
	v_pack_b32_f16 v10, v10, v11
	ds_store_2addr_b32 v190, v10, v0 offset0:40 offset1:50
	v_sub_f16_e32 v0, v35, v20
	v_pack_b32_f16 v0, v0, v2
	v_sub_f16_e32 v2, v34, v8
	ds_store_2addr_b32 v190, v0, v1 offset0:60 offset1:70
	v_sub_f16_e32 v0, v3, v7
	v_sub_f16_e32 v1, v9, v4
	s_delay_alu instid0(VALU_DEP_2) | instskip(NEXT) | instid1(VALU_DEP_2)
	v_pack_b32_f16 v0, v0, v2
	v_pack_b32_f16 v1, v65, v1
	ds_store_2addr_b32 v190, v1, v0 offset0:80 offset1:90
	s_waitcnt lgkmcnt(0)
	s_barrier
	buffer_gl0_inv
	ds_load_2addr_b32 v[0:1], v115 offset0:96 offset1:216
	s_waitcnt lgkmcnt(0)
	v_lshrrev_b32_e32 v2, 16, v1
	v_mul_f16_e64 v3, v227, v1
	s_delay_alu instid0(VALU_DEP_2) | instskip(NEXT) | instid1(VALU_DEP_2)
	v_mul_f16_e64 v34, v227, v2
	v_fma_f16 v35, v24, v2, -v3
	ds_load_2addr_b32 v[2:3], v110 offset0:48 offset1:168
	v_fmac_f16_e32 v34, v24, v1
	s_waitcnt lgkmcnt(0)
	v_lshrrev_b32_e32 v4, 16, v2
	v_mul_f16_e64 v5, v235, v2
	s_delay_alu instid0(VALU_DEP_2) | instskip(NEXT) | instid1(VALU_DEP_2)
	v_mul_f16_e64 v10, v235, v4
	v_fma_f16 v11, v25, v4, -v5
	ds_load_2addr_b32 v[4:5], v142 offset0:16 offset1:136
	v_fmac_f16_e32 v10, v25, v2
	ds_load_2addr_b32 v[1:2], v131 offset0:80 offset1:200
	s_waitcnt lgkmcnt(1)
	v_lshrrev_b32_e32 v6, 16, v5
	v_mul_f16_e64 v7, v230, v5
	s_delay_alu instid0(VALU_DEP_2) | instskip(NEXT) | instid1(VALU_DEP_2)
	v_mul_f16_e64 v13, v230, v6
	v_fma_f16 v14, v26, v6, -v7
	ds_load_2addr_b32 v[6:7], v145 offset0:96 offset1:216
	v_fmac_f16_e32 v13, v26, v5
	v_lshrrev_b32_e32 v5, 16, v3
	s_delay_alu instid0(VALU_DEP_1) | instskip(NEXT) | instid1(VALU_DEP_1)
	v_mul_f16_e64 v40, v228, v5
	v_fmac_f16_e32 v40, v29, v3
	v_mul_f16_e64 v3, v228, v3
	s_waitcnt lgkmcnt(0)
	v_lshrrev_b32_e32 v8, 16, v6
	v_mul_f16_e64 v9, v236, v6
	s_delay_alu instid0(VALU_DEP_3) | instskip(NEXT) | instid1(VALU_DEP_3)
	v_fma_f16 v65, v29, v5, -v3
	v_mul_f16_e64 v15, v236, v8
	s_delay_alu instid0(VALU_DEP_3) | instskip(SKIP_2) | instid1(VALU_DEP_4)
	v_fma_f16 v41, v27, v8, -v9
	v_mul_f16_e64 v9, v238, v1
	v_lshrrev_b32_e32 v8, 16, v7
	v_fmac_f16_e32 v15, v27, v6
	v_lshrrev_b32_e32 v6, 16, v1
	s_delay_alu instid0(VALU_DEP_3) | instskip(NEXT) | instid1(VALU_DEP_2)
	v_mul_f16_e64 v43, v226, v8
	v_mul_f16_e64 v32, v238, v6
	v_fma_f16 v33, v28, v6, -v9
	ds_load_2addr_b32 v[5:6], v139 offset0:128 offset1:248
	v_fmac_f16_e32 v43, v31, v7
	v_mul_f16_e64 v7, v226, v7
	v_fmac_f16_e32 v32, v28, v1
	v_lshrrev_b32_e32 v1, 16, v2
	s_delay_alu instid0(VALU_DEP_3) | instskip(NEXT) | instid1(VALU_DEP_2)
	v_fma_f16 v68, v31, v8, -v7
	v_mul_f16_e64 v24, v191, v1
	s_delay_alu instid0(VALU_DEP_1) | instskip(SKIP_1) | instid1(VALU_DEP_1)
	v_fmac_f16_e32 v24, v56, v2
	v_mul_f16_e64 v2, v191, v2
	v_fma_f16 v25, v56, v1, -v2
	ds_load_2addr_b32 v[1:2], v187 offset0:32 offset1:152
	s_waitcnt lgkmcnt(1)
	v_lshrrev_b32_e32 v3, 16, v5
	v_mul_f16_e64 v9, v234, v5
	v_sub_f16_e32 v56, v11, v41
	s_delay_alu instid0(VALU_DEP_3) | instskip(NEXT) | instid1(VALU_DEP_3)
	v_mul_f16_e64 v66, v234, v3
	v_fma_f16 v67, v30, v3, -v9
	v_lshrrev_b32_e32 v3, 16, v6
	s_delay_alu instid0(VALU_DEP_3) | instskip(SKIP_1) | instid1(VALU_DEP_3)
	v_fmac_f16_e32 v66, v30, v5
	v_mul_f16_e64 v5, v186, v6
	v_mul_f16_e64 v26, v186, v3
	s_delay_alu instid0(VALU_DEP_2) | instskip(NEXT) | instid1(VALU_DEP_2)
	v_fma_f16 v27, v58, v3, -v5
	v_fmac_f16_e32 v26, v58, v6
	s_waitcnt lgkmcnt(0)
	v_lshrrev_b32_e32 v6, 16, v1
	v_mul_f16_e64 v7, v197, v1
	s_delay_alu instid0(VALU_DEP_2) | instskip(NEXT) | instid1(VALU_DEP_2)
	v_mul_f16_e64 v28, v197, v6
	v_fma_f16 v29, v57, v6, -v7
	ds_load_2addr_b32 v[5:6], v105 offset0:80 offset1:200
	v_fmac_f16_e32 v28, v57, v1
	s_waitcnt lgkmcnt(0)
	v_lshrrev_b32_e32 v3, 16, v5
	v_mul_f16_e64 v7, v200, v5
	v_mul_f16_e64 v8, v140, v6
	s_delay_alu instid0(VALU_DEP_3) | instskip(NEXT) | instid1(VALU_DEP_3)
	v_mul_f16_e64 v30, v200, v3
	v_fma_f16 v31, v59, v3, -v7
	v_lshrrev_b32_e32 v3, 16, v2
	v_lshrrev_b32_e32 v7, 16, v6
	s_delay_alu instid0(VALU_DEP_4) | instskip(SKIP_1) | instid1(VALU_DEP_4)
	v_fmac_f16_e32 v30, v59, v5
	v_mul_f16_e64 v5, v136, v2
	v_mul_f16_e64 v18, v136, v3
	s_delay_alu instid0(VALU_DEP_4)
	v_mul_f16_e64 v19, v140, v7
	v_fma_f16 v23, v51, v7, -v8
	v_lshrrev_b32_e32 v7, 16, v4
	v_fma_f16 v20, v49, v3, -v5
	v_fmac_f16_e32 v18, v49, v2
	ds_load_2addr_b32 v[1:2], v153 offset0:64 offset1:184
	v_fmac_f16_e32 v19, v51, v6
	v_mul_f16_e32 v8, v111, v4
	v_add_f16_e32 v51, v11, v41
	s_waitcnt lgkmcnt(0)
	v_lshrrev_b32_e32 v6, 16, v1
	v_mul_f16_e32 v9, v64, v1
	s_delay_alu instid0(VALU_DEP_2) | instskip(NEXT) | instid1(VALU_DEP_2)
	v_mul_f16_e32 v16, v64, v6
	v_fma_f16 v17, v48, v6, -v9
	ds_load_2addr_b32 v[5:6], v148 offset0:112 offset1:232
	v_fmac_f16_e32 v16, v48, v1
	s_waitcnt lgkmcnt(0)
	v_lshrrev_b32_e32 v3, 16, v5
	v_mul_f16_e32 v9, v108, v5
	v_mul_f16_e64 v12, v209, v6
	s_delay_alu instid0(VALU_DEP_3) | instskip(NEXT) | instid1(VALU_DEP_3)
	v_mul_f16_e32 v22, v108, v3
	v_fma_f16 v21, v50, v3, -v9
	v_mul_f16_e32 v3, v111, v7
	v_lshrrev_b32_e32 v9, 16, v6
	s_delay_alu instid0(VALU_DEP_4) | instskip(SKIP_1) | instid1(VALU_DEP_4)
	v_fmac_f16_e32 v22, v50, v5
	v_lshrrev_b32_e32 v5, 16, v2
	v_fmac_f16_e64 v3, v181, v4
	s_delay_alu instid0(VALU_DEP_4) | instskip(NEXT) | instid1(VALU_DEP_3)
	v_mul_f16_e64 v4, v209, v9
	v_mul_f16_e64 v1, v210, v5
	s_delay_alu instid0(VALU_DEP_2) | instskip(SKIP_1) | instid1(VALU_DEP_3)
	v_fmac_f16_e64 v4, v182, v6
	v_fma_f16 v6, v181, v7, -v8
	v_fmac_f16_e64 v1, v180, v2
	v_mul_f16_e64 v2, v210, v2
	s_delay_alu instid0(VALU_DEP_1)
	v_fma_f16 v2, v180, v5, -v2
	v_fma_f16 v5, v182, v9, -v12
	ds_load_2addr_b32 v[8:9], v192 offset0:64 offset1:184
	s_waitcnt lgkmcnt(0)
	v_lshrrev_b32_e32 v7, 16, v8
	v_mul_f16_e64 v42, v178, v8
	v_mul_f16_e64 v48, v215, v9
	s_delay_alu instid0(VALU_DEP_3) | instskip(NEXT) | instid1(VALU_DEP_3)
	v_mul_f16_e64 v12, v178, v7
	v_fma_f16 v7, v183, v7, -v42
	s_delay_alu instid0(VALU_DEP_2) | instskip(SKIP_1) | instid1(VALU_DEP_1)
	v_fmac_f16_e64 v12, v183, v8
	v_lshrrev_b32_e32 v8, 16, v9
	v_mul_f16_e64 v42, v215, v8
	v_fma_f16 v48, v213, v8, -v48
	s_delay_alu instid0(VALU_DEP_2)
	v_fmac_f16_e64 v42, v213, v9
	ds_load_2addr_b32 v[8:9], v135 offset1:120
	v_add_f16_e32 v57, v13, v42
	v_sub_f16_e32 v58, v13, v42
	s_waitcnt lgkmcnt(0)
	v_lshrrev_b32_e32 v49, 16, v8
	s_delay_alu instid0(VALU_DEP_1) | instskip(SKIP_2) | instid1(VALU_DEP_3)
	v_add_f16_e32 v50, v49, v11
	v_add_f16_e32 v11, v8, v10
	v_fmac_f16_e32 v49, -0.5, v51
	v_add_f16_e32 v50, v50, v41
	s_delay_alu instid0(VALU_DEP_3) | instskip(SKIP_4) | instid1(VALU_DEP_4)
	v_add_f16_e32 v51, v11, v15
	v_add_f16_e32 v11, v10, v15
	v_sub_f16_e32 v15, v10, v15
	v_add_f16_e32 v10, v14, v48
	v_add_f16_e32 v41, v35, v14
	v_fma_f16 v8, -0.5, v11, v8
	s_delay_alu instid0(VALU_DEP_4) | instskip(NEXT) | instid1(VALU_DEP_4)
	v_fmamk_f16 v72, v15, 0x3aee, v49
	v_fmac_f16_e32 v35, -0.5, v10
	v_add_f16_e32 v10, v34, v13
	v_fmac_f16_e32 v34, -0.5, v57
	v_sub_f16_e32 v57, v14, v48
	v_add_f16_e32 v48, v41, v48
	v_fmamk_f16 v71, v56, 0xbaee, v8
	v_add_f16_e32 v59, v10, v42
	v_fmamk_f16 v10, v58, 0x3aee, v35
	v_fmac_f16_e32 v35, 0xbaee, v58
	v_add_f16_e32 v13, v50, v48
	v_fmac_f16_e32 v49, 0xbaee, v15
	v_sub_f16_e32 v48, v50, v48
	v_mul_f16_e32 v64, 0xbaee, v10
	v_mul_f16_e32 v69, 0.5, v10
	v_fmamk_f16 v10, v57, 0xbaee, v34
	v_fmac_f16_e32 v34, 0x3aee, v57
	v_mul_f16_e32 v15, 0xbaee, v35
	v_mul_f16_e32 v35, -0.5, v35
	v_fmac_f16_e32 v8, 0x3aee, v56
	v_fmac_f16_e32 v64, 0.5, v10
	v_fmac_f16_e32 v69, 0x3aee, v10
	v_add_f16_e32 v10, v51, v59
	v_fmac_f16_e32 v15, -0.5, v34
	v_fmac_f16_e32 v35, 0x3aee, v34
	v_sub_f16_e32 v34, v51, v59
	v_add_f16_e32 v11, v72, v69
	v_pack_b32_f16 v70, v10, v13
	v_add_f16_e32 v10, v71, v64
	v_add_f16_e32 v50, v8, v15
	v_pack_b32_f16 v34, v34, v48
	v_add_f16_e32 v51, v49, v35
	v_sub_f16_e32 v8, v8, v15
	v_pack_b32_f16 v73, v10, v11
	ds_load_2addr_b32 v[10:11], v134 offset0:48 offset1:168
	ds_load_2addr_b32 v[13:14], v154 offset0:112 offset1:232
	;; [unrolled: 1-line block ×3, first 2 shown]
	s_waitcnt lgkmcnt(0)
	s_barrier
	buffer_gl0_inv
	scratch_load_b32 v48, off, off offset:216 ; 4-byte Folded Reload
	v_pack_b32_f16 v50, v50, v51
	v_sub_f16_e32 v15, v72, v69
	v_sub_f16_e32 v35, v49, v35
	;; [unrolled: 1-line block ×3, first 2 shown]
	ds_store_2addr_b32 v195, v70, v73 offset1:100
	v_pack_b32_f16 v8, v8, v35
	v_add_f16_e32 v35, v9, v40
	s_delay_alu instid0(VALU_DEP_1) | instskip(SKIP_4) | instid1(VALU_DEP_2)
	v_add_f16_e32 v35, v35, v43
	s_waitcnt vmcnt(0)
	ds_store_2addr_b32 v48, v50, v34 offset0:72 offset1:172
	v_sub_f16_e32 v34, v71, v64
	v_add_f16_e32 v48, v65, v68
	v_pack_b32_f16 v15, v34, v15
	ds_store_2addr_b32 v201, v15, v8 offset0:144 offset1:244
	v_lshrrev_b32_e32 v8, 16, v10
	v_mul_f16_e32 v15, v107, v10
	s_delay_alu instid0(VALU_DEP_2) | instskip(NEXT) | instid1(VALU_DEP_2)
	v_mul_f16_e32 v34, v107, v8
	v_fma_f16 v8, v176, v8, -v15
	v_lshrrev_b32_e32 v15, 16, v9
	s_delay_alu instid0(VALU_DEP_3) | instskip(SKIP_3) | instid1(VALU_DEP_4)
	v_fmac_f16_e64 v34, v176, v10
	v_add_f16_e32 v10, v40, v43
	v_sub_f16_e32 v40, v40, v43
	v_add_f16_e32 v43, v67, v8
	v_add_f16_e32 v50, v66, v34
	s_delay_alu instid0(VALU_DEP_4)
	v_fmac_f16_e32 v9, -0.5, v10
	v_add_f16_e32 v10, v15, v65
	v_fmac_f16_e32 v15, -0.5, v48
	v_add_f16_e32 v48, v33, v67
	;; [unrolled: 2-line block ×3, first 2 shown]
	v_sub_f16_e32 v51, v66, v34
	v_fmac_f16_e32 v32, -0.5, v50
	v_add_f16_e32 v10, v10, v68
	v_fmamk_f16 v58, v40, 0x3aee, v15
	v_add_f16_e32 v34, v43, v34
	v_sub_f16_e32 v43, v67, v8
	v_add_f16_e32 v8, v48, v8
	v_fmamk_f16 v48, v51, 0x3aee, v33
	v_fmac_f16_e32 v33, 0xbaee, v51
	v_fmac_f16_e32 v15, 0xbaee, v40
	v_fmamk_f16 v56, v43, 0xbaee, v32
	v_fmac_f16_e32 v32, 0x3aee, v43
	v_add_f16_e32 v57, v10, v8
	v_mul_f16_e32 v40, 0xbaee, v33
	v_mul_f16_e32 v33, -0.5, v33
	v_sub_f16_e32 v8, v10, v8
	v_mul_f16_e32 v50, 0xbaee, v48
	v_mul_f16_e32 v48, 0.5, v48
	v_fmac_f16_e32 v40, -0.5, v32
	v_fmac_f16_e32 v33, 0x3aee, v32
	v_sub_f16_e32 v32, v35, v34
	v_fmac_f16_e32 v50, 0.5, v56
	v_fmac_f16_e32 v48, 0x3aee, v56
	v_add_f16_e32 v56, v35, v34
	v_add_f16_e32 v34, v15, v33
	v_pack_b32_f16 v8, v32, v8
	scratch_load_b32 v32, off, off offset:208 ; 4-byte Folded Reload
	v_sub_f16_e32 v15, v15, v33
	v_pack_b32_f16 v56, v56, v57
	v_fmamk_f16 v57, v49, 0xbaee, v9
	v_fmac_f16_e32 v9, 0x3aee, v49
	v_add_f16_e32 v64, v58, v48
	s_delay_alu instid0(VALU_DEP_3) | instskip(NEXT) | instid1(VALU_DEP_3)
	v_add_f16_e32 v59, v57, v50
	v_add_f16_e32 v10, v9, v40
	s_delay_alu instid0(VALU_DEP_2) | instskip(NEXT) | instid1(VALU_DEP_2)
	v_pack_b32_f16 v59, v59, v64
	v_pack_b32_f16 v10, v10, v34
	ds_store_2addr_b32 v196, v56, v59 offset1:100
	s_waitcnt vmcnt(0)
	ds_store_2addr_b32 v32, v10, v8 offset0:72 offset1:172
	v_sub_f16_e32 v8, v9, v40
	v_sub_f16_e32 v9, v57, v50
	;; [unrolled: 1-line block ×3, first 2 shown]
	v_add_f16_e32 v32, v25, v27
	s_delay_alu instid0(VALU_DEP_4) | instskip(SKIP_1) | instid1(VALU_DEP_4)
	v_pack_b32_f16 v8, v8, v15
	v_add_f16_e32 v15, v29, v31
	v_pack_b32_f16 v9, v9, v10
	scratch_load_b32 v10, off, off offset:212 ; 4-byte Folded Reload
	s_waitcnt vmcnt(0)
	ds_store_2addr_b32 v10, v9, v8 offset0:144 offset1:244
	v_lshrrev_b32_e32 v8, 16, v11
	v_mul_f16_e64 v10, v199, v11
	s_delay_alu instid0(VALU_DEP_2) | instskip(NEXT) | instid1(VALU_DEP_2)
	v_mul_f16_e64 v9, v199, v8
	v_fma_f16 v8, v188, v8, -v10
	v_lshrrev_b32_e32 v10, 16, v13
	s_delay_alu instid0(VALU_DEP_3) | instskip(NEXT) | instid1(VALU_DEP_2)
	v_fmac_f16_e64 v9, v188, v11
	v_add_f16_e32 v11, v10, v29
	v_fmac_f16_e32 v10, -0.5, v15
	v_add_f16_e32 v15, v13, v28
	v_sub_f16_e32 v29, v29, v31
	v_add_f16_e32 v33, v26, v9
	v_add_f16_e32 v11, v11, v31
	v_add_f16_e32 v31, v28, v30
	v_add_f16_e32 v15, v15, v30
	v_sub_f16_e32 v28, v28, v30
	v_add_f16_e32 v30, v27, v8
	v_sub_f16_e32 v27, v27, v8
	v_add_f16_e32 v8, v32, v8
	v_fma_f16 v13, -0.5, v31, v13
	s_delay_alu instid0(VALU_DEP_4)
	v_fmac_f16_e32 v25, -0.5, v30
	v_add_f16_e32 v30, v24, v26
	v_sub_f16_e32 v26, v26, v9
	v_fmac_f16_e32 v24, -0.5, v33
	v_add_f16_e32 v34, v11, v8
	v_sub_f16_e32 v8, v11, v8
	v_add_f16_e32 v9, v30, v9
	v_fmamk_f16 v30, v26, 0x3aee, v25
	v_fmamk_f16 v33, v27, 0xbaee, v24
	v_fmac_f16_e32 v25, 0xbaee, v26
	v_fmac_f16_e32 v24, 0x3aee, v27
	v_fmamk_f16 v31, v29, 0xbaee, v13
	v_mul_f16_e32 v32, 0xbaee, v30
	v_mul_f16_e32 v30, 0.5, v30
	v_mul_f16_e32 v26, 0xbaee, v25
	v_mul_f16_e32 v25, -0.5, v25
	v_fmac_f16_e32 v13, 0x3aee, v29
	v_fmac_f16_e32 v32, 0.5, v33
	v_fmac_f16_e32 v30, 0x3aee, v33
	v_add_f16_e32 v33, v15, v9
	v_sub_f16_e32 v9, v15, v9
	v_fmac_f16_e32 v26, -0.5, v24
	v_fmac_f16_e32 v25, 0x3aee, v24
	v_add_f16_e32 v24, v17, v21
	v_pack_b32_f16 v33, v33, v34
	v_pack_b32_f16 v8, v9, v8
	scratch_load_b32 v9, off, off offset:220 ; 4-byte Folded Reload
	v_fmamk_f16 v34, v28, 0x3aee, v10
	v_fmac_f16_e32 v10, 0xbaee, v28
	v_add_f16_e32 v11, v13, v26
	v_add_f16_e32 v35, v31, v32
	s_delay_alu instid0(VALU_DEP_4) | instskip(NEXT) | instid1(VALU_DEP_4)
	v_add_f16_e32 v40, v34, v30
	v_add_f16_e32 v15, v10, v25
	v_sub_f16_e32 v10, v10, v25
	s_delay_alu instid0(VALU_DEP_3) | instskip(NEXT) | instid1(VALU_DEP_3)
	v_pack_b32_f16 v35, v35, v40
	v_pack_b32_f16 v11, v11, v15
	v_add_f16_e32 v15, v16, v22
	ds_store_2addr_b32 v204, v33, v35 offset1:100
	s_waitcnt vmcnt(0)
	ds_store_2addr_b32 v9, v11, v8 offset0:72 offset1:172
	v_sub_f16_e32 v9, v13, v26
	v_sub_f16_e32 v8, v31, v32
	;; [unrolled: 1-line block ×3, first 2 shown]
	v_add_f16_e32 v13, v14, v18
	s_delay_alu instid0(VALU_DEP_4) | instskip(SKIP_4) | instid1(VALU_DEP_2)
	v_pack_b32_f16 v9, v9, v10
	scratch_load_b32 v10, off, off offset:204 ; 4-byte Folded Reload
	v_pack_b32_f16 v8, v8, v11
	v_lshrrev_b32_e32 v11, 16, v14
	v_add_f16_e32 v13, v13, v19
	v_add_f16_e32 v25, v11, v20
	s_waitcnt vmcnt(0)
	ds_store_2addr_b32 v10, v8, v9 offset0:144 offset1:244
	v_lshrrev_b32_e32 v8, 16, v41
	v_mul_f16_e32 v9, v106, v41
	s_delay_alu instid0(VALU_DEP_2) | instskip(NEXT) | instid1(VALU_DEP_2)
	v_mul_f16_e32 v10, v106, v8
	v_fma_f16 v8, v174, v8, -v9
	v_add_f16_e32 v9, v18, v19
	s_delay_alu instid0(VALU_DEP_3) | instskip(NEXT) | instid1(VALU_DEP_2)
	v_fmac_f16_e64 v10, v174, v41
	v_fmac_f16_e32 v14, -0.5, v9
	s_delay_alu instid0(VALU_DEP_2) | instskip(NEXT) | instid1(VALU_DEP_1)
	v_add_f16_e32 v9, v22, v10
	v_fmac_f16_e32 v16, -0.5, v9
	v_add_f16_e32 v9, v21, v8
	s_delay_alu instid0(VALU_DEP_1) | instskip(SKIP_1) | instid1(VALU_DEP_1)
	v_fmac_f16_e32 v17, -0.5, v9
	v_add_f16_e32 v9, v20, v23
	v_fmac_f16_e32 v11, -0.5, v9
	v_sub_f16_e32 v9, v18, v19
	v_sub_f16_e32 v18, v20, v23
	;; [unrolled: 1-line block ×3, first 2 shown]
	v_add_f16_e32 v10, v15, v10
	v_sub_f16_e32 v15, v21, v8
	v_add_f16_e32 v19, v25, v23
	v_add_f16_e32 v8, v24, v8
	v_fmamk_f16 v21, v20, 0x3aee, v17
	v_fmac_f16_e32 v17, 0xbaee, v20
	v_fmamk_f16 v23, v15, 0xbaee, v16
	v_fmamk_f16 v25, v9, 0x3aee, v11
	v_add_f16_e32 v24, v19, v8
	v_mul_f16_e32 v22, 0xbaee, v21
	v_mul_f16_e32 v21, 0.5, v21
	v_sub_f16_e32 v8, v19, v8
	v_fmac_f16_e32 v16, 0x3aee, v15
	v_fmac_f16_e32 v11, 0xbaee, v9
	v_fmac_f16_e32 v22, 0.5, v23
	v_fmac_f16_e32 v21, 0x3aee, v23
	v_add_f16_e32 v23, v13, v10
	v_sub_f16_e32 v10, v13, v10
	v_mul_f16_e32 v9, 0xbaee, v17
	v_mul_f16_e32 v15, -0.5, v17
	v_add_f16_e32 v27, v25, v21
	v_pack_b32_f16 v23, v23, v24
	v_pack_b32_f16 v8, v10, v8
	scratch_load_b32 v10, off, off offset:196 ; 4-byte Folded Reload
	v_fmamk_f16 v24, v18, 0xbaee, v14
	v_fmac_f16_e32 v14, 0x3aee, v18
	v_fmac_f16_e32 v9, -0.5, v16
	v_fmac_f16_e32 v15, 0x3aee, v16
	s_delay_alu instid0(VALU_DEP_4) | instskip(NEXT) | instid1(VALU_DEP_3)
	v_add_f16_e32 v26, v24, v22
	v_add_f16_e32 v13, v14, v9
	s_delay_alu instid0(VALU_DEP_3) | instskip(SKIP_3) | instid1(VALU_DEP_4)
	v_add_f16_e32 v16, v11, v15
	v_sub_f16_e32 v11, v11, v15
	v_add_f16_e32 v15, v2, v5
	v_pack_b32_f16 v26, v26, v27
	v_pack_b32_f16 v13, v13, v16
	ds_store_2addr_b32 v193, v23, v26 offset1:100
	s_waitcnt vmcnt(0)
	ds_store_2addr_b32 v10, v13, v8 offset0:72 offset1:172
	v_sub_f16_e32 v8, v14, v9
	v_sub_f16_e32 v9, v24, v22
	;; [unrolled: 1-line block ×3, first 2 shown]
	v_add_f16_e32 v13, v0, v3
	v_add_f16_e32 v14, v1, v4
	v_pack_b32_f16 v8, v8, v11
	v_lshrrev_b32_e32 v11, 16, v0
	v_pack_b32_f16 v9, v9, v10
	scratch_load_b32 v10, off, off offset:200 ; 4-byte Folded Reload
	v_add_f16_e32 v16, v11, v6
	s_waitcnt vmcnt(0)
	ds_store_2addr_b32 v10, v9, v8 offset0:144 offset1:244
	v_lshrrev_b32_e32 v8, 16, v42
	v_mul_f16_e64 v10, v162, v42
	s_delay_alu instid0(VALU_DEP_2) | instskip(NEXT) | instid1(VALU_DEP_2)
	v_mul_f16_e64 v9, v162, v8
	v_fma_f16 v8, v160, v8, -v10
	v_add_f16_e32 v10, v3, v12
	v_sub_f16_e32 v3, v3, v12
	s_delay_alu instid0(VALU_DEP_4) | instskip(NEXT) | instid1(VALU_DEP_3)
	v_fmac_f16_e64 v9, v160, v42
	v_fmac_f16_e32 v0, -0.5, v10
	s_delay_alu instid0(VALU_DEP_2) | instskip(SKIP_2) | instid1(VALU_DEP_3)
	v_add_f16_e32 v10, v4, v9
	v_sub_f16_e32 v4, v4, v9
	v_add_f16_e32 v9, v14, v9
	v_fmac_f16_e32 v1, -0.5, v10
	v_add_f16_e32 v10, v5, v8
	v_sub_f16_e32 v5, v5, v8
	v_add_f16_e32 v8, v15, v8
	s_delay_alu instid0(VALU_DEP_3)
	v_fmac_f16_e32 v2, -0.5, v10
	v_add_f16_e32 v10, v6, v7
	v_sub_f16_e32 v6, v6, v7
	v_add_f16_e32 v7, v16, v7
	v_fmamk_f16 v14, v5, 0xbaee, v1
	v_fmac_f16_e32 v1, 0x3aee, v5
	v_fmac_f16_e32 v11, -0.5, v10
	v_add_f16_e32 v10, v13, v12
	v_fmamk_f16 v12, v4, 0x3aee, v2
	v_fmac_f16_e32 v2, 0xbaee, v4
	v_add_f16_e32 v15, v7, v8
	v_fmamk_f16 v16, v3, 0x3aee, v11
	v_fmac_f16_e32 v11, 0xbaee, v3
	v_mul_f16_e32 v13, 0xbaee, v12
	v_mul_f16_e32 v12, 0.5, v12
	v_mul_f16_e32 v3, 0xbaee, v2
	v_mul_f16_e32 v2, -0.5, v2
	v_sub_f16_e32 v4, v7, v8
	v_fmac_f16_e32 v13, 0.5, v14
	v_fmac_f16_e32 v12, 0x3aee, v14
	v_add_f16_e32 v14, v10, v9
	v_fmac_f16_e32 v3, -0.5, v1
	v_fmac_f16_e32 v2, 0x3aee, v1
	v_sub_f16_e32 v1, v10, v9
	v_add_f16_e32 v18, v16, v12
	v_pack_b32_f16 v14, v14, v15
	v_fmamk_f16 v15, v6, 0xbaee, v0
	v_fmac_f16_e32 v0, 0x3aee, v6
	v_pack_b32_f16 v1, v1, v4
	scratch_load_b32 v4, off, off offset:188 ; 4-byte Folded Reload
	v_add_f16_e32 v6, v11, v2
	v_sub_f16_e32 v2, v11, v2
	v_add_f16_e32 v5, v0, v3
	v_sub_f16_e32 v0, v0, v3
	;; [unrolled: 2-line block ×3, first 2 shown]
	s_delay_alu instid0(VALU_DEP_4) | instskip(NEXT) | instid1(VALU_DEP_4)
	v_pack_b32_f16 v5, v5, v6
	v_pack_b32_f16 v0, v0, v2
	scratch_load_b32 v2, off, off offset:192 ; 4-byte Folded Reload
	v_pack_b32_f16 v17, v17, v18
	ds_store_2addr_b32 v189, v14, v17 offset1:100
	s_waitcnt vmcnt(1)
	ds_store_2addr_b32 v4, v5, v1 offset0:72 offset1:172
	v_sub_f16_e32 v1, v15, v13
	s_delay_alu instid0(VALU_DEP_1)
	v_pack_b32_f16 v1, v1, v3
	s_waitcnt vmcnt(0)
	ds_store_2addr_b32 v2, v1, v0 offset0:144 offset1:244
	s_waitcnt lgkmcnt(0)
	s_barrier
	buffer_gl0_inv
	ds_load_2addr_b32 v[0:1], v115 offset0:96 offset1:216
	s_waitcnt lgkmcnt(0)
	v_lshrrev_b32_e32 v2, 16, v1
	v_mul_f16_e64 v3, v246, v1
	s_delay_alu instid0(VALU_DEP_2) | instskip(NEXT) | instid1(VALU_DEP_2)
	v_mul_f16_e64 v42, v246, v2
	v_fma_f16 v43, v44, v2, -v3
	ds_load_2addr_b32 v[2:3], v110 offset0:48 offset1:168
	v_fmac_f16_e32 v42, v44, v1
	s_waitcnt lgkmcnt(0)
	v_lshrrev_b32_e32 v4, 16, v2
	v_mul_f16_e64 v5, v250, v2
	s_delay_alu instid0(VALU_DEP_2) | instskip(NEXT) | instid1(VALU_DEP_2)
	v_mul_f16_e64 v48, v250, v4
	v_fma_f16 v49, v45, v4, -v5
	ds_load_2addr_b32 v[4:5], v142 offset0:16 offset1:136
	v_fmac_f16_e32 v48, v45, v2
	ds_load_2addr_b32 v[1:2], v131 offset0:80 offset1:200
	s_waitcnt lgkmcnt(1)
	v_lshrrev_b32_e32 v6, 16, v5
	v_mul_f16_e64 v7, v247, v5
	s_delay_alu instid0(VALU_DEP_2) | instskip(NEXT) | instid1(VALU_DEP_2)
	v_mul_f16_e64 v50, v247, v6
	v_fma_f16 v51, v46, v6, -v7
	ds_load_2addr_b32 v[6:7], v145 offset0:96 offset1:216
	v_fmac_f16_e32 v50, v46, v5
	v_lshrrev_b32_e32 v5, 16, v3
	s_delay_alu instid0(VALU_DEP_1) | instskip(NEXT) | instid1(VALU_DEP_1)
	v_mul_f16_e64 v23, v242, v5
	v_fmac_f16_e32 v23, v37, v3
	v_mul_f16_e64 v3, v242, v3
	s_waitcnt lgkmcnt(0)
	v_lshrrev_b32_e32 v8, 16, v6
	v_mul_f16_e64 v9, v251, v6
	s_delay_alu instid0(VALU_DEP_3) | instskip(NEXT) | instid1(VALU_DEP_3)
	v_fma_f16 v37, v37, v5, -v3
	v_mul_f16_e64 v56, v251, v8
	s_delay_alu instid0(VALU_DEP_3) | instskip(SKIP_2) | instid1(VALU_DEP_4)
	v_fma_f16 v57, v47, v8, -v9
	v_mul_f16_e64 v9, v249, v1
	v_lshrrev_b32_e32 v8, 16, v7
	v_fmac_f16_e32 v56, v47, v6
	v_lshrrev_b32_e32 v6, 16, v1
	v_add_f16_e32 v44, v49, v57
	s_delay_alu instid0(VALU_DEP_4) | instskip(NEXT) | instid1(VALU_DEP_4)
	v_mul_f16_e64 v30, v240, v8
	v_add_f16_e32 v46, v48, v56
	s_delay_alu instid0(VALU_DEP_4)
	v_mul_f16_e64 v27, v249, v6
	v_fma_f16 v29, v36, v6, -v9
	ds_load_2addr_b32 v[5:6], v139 offset0:128 offset1:248
	v_fmac_f16_e32 v30, v39, v7
	v_mul_f16_e64 v7, v240, v7
	v_fmac_f16_e32 v27, v36, v1
	v_lshrrev_b32_e32 v1, 16, v2
	v_sub_f16_e32 v47, v48, v56
	s_delay_alu instid0(VALU_DEP_4) | instskip(NEXT) | instid1(VALU_DEP_3)
	v_fma_f16 v39, v39, v8, -v7
	v_mul_f16_e32 v22, v99, v1
	s_delay_alu instid0(VALU_DEP_1) | instskip(SKIP_1) | instid1(VALU_DEP_1)
	v_fmac_f16_e32 v22, v60, v2
	v_mul_f16_e32 v2, v99, v2
	v_fma_f16 v33, v60, v1, -v2
	ds_load_2addr_b32 v[1:2], v187 offset0:32 offset1:152
	s_waitcnt lgkmcnt(1)
	v_lshrrev_b32_e32 v3, 16, v5
	v_mul_f16_e64 v9, v243, v5
	s_delay_alu instid0(VALU_DEP_2) | instskip(NEXT) | instid1(VALU_DEP_2)
	v_mul_f16_e64 v35, v243, v3
	v_fma_f16 v34, v38, v3, -v9
	v_lshrrev_b32_e32 v3, 16, v6
	s_delay_alu instid0(VALU_DEP_3) | instskip(SKIP_1) | instid1(VALU_DEP_3)
	v_fmac_f16_e32 v35, v38, v5
	v_mul_f16_e32 v5, v113, v6
	v_mul_f16_e32 v32, v113, v3
	s_delay_alu instid0(VALU_DEP_2) | instskip(NEXT) | instid1(VALU_DEP_2)
	v_fma_f16 v36, v62, v3, -v5
	v_fmac_f16_e32 v32, v62, v6
	s_waitcnt lgkmcnt(0)
	v_lshrrev_b32_e32 v7, 16, v1
	v_mul_f16_e32 v8, v109, v1
	s_delay_alu instid0(VALU_DEP_2) | instskip(NEXT) | instid1(VALU_DEP_2)
	v_mul_f16_e32 v6, v109, v7
	v_fma_f16 v38, v61, v7, -v8
	ds_load_2addr_b32 v[7:8], v105 offset0:80 offset1:200
	v_fmac_f16_e32 v6, v61, v1
	s_waitcnt lgkmcnt(0)
	v_lshrrev_b32_e32 v3, 16, v7
	v_mul_f16_e64 v5, v132, v7
	v_lshrrev_b32_e32 v10, 16, v8
	v_mul_f16_e64 v11, v179, v8
	s_delay_alu instid0(VALU_DEP_4) | instskip(NEXT) | instid1(VALU_DEP_4)
	v_mul_f16_e64 v12, v132, v3
	v_fma_f16 v13, v63, v3, -v5
	v_lshrrev_b32_e32 v3, 16, v2
	v_mul_f16_e32 v5, v100, v2
	v_mul_f16_e64 v20, v179, v10
	v_fmac_f16_e32 v12, v63, v7
	v_fma_f16 v31, v55, v10, -v11
	v_mul_f16_e32 v7, v100, v3
	v_fma_f16 v28, v53, v3, -v5
	v_fmac_f16_e32 v20, v55, v8
	s_delay_alu instid0(VALU_DEP_3) | instskip(SKIP_4) | instid1(VALU_DEP_2)
	v_fmac_f16_e32 v7, v53, v2
	ds_load_2addr_b32 v[1:2], v153 offset0:64 offset1:184
	s_waitcnt lgkmcnt(0)
	v_lshrrev_b32_e32 v8, 16, v1
	v_mul_f16_e64 v9, v252, v1
	v_mul_f16_e64 v24, v252, v8
	s_delay_alu instid0(VALU_DEP_2) | instskip(SKIP_4) | instid1(VALU_DEP_2)
	v_fma_f16 v21, v52, v8, -v9
	ds_load_2addr_b32 v[8:9], v148 offset0:112 offset1:232
	v_fmac_f16_e32 v24, v52, v1
	v_lshrrev_b32_e32 v1, 16, v2
	v_add_f16_e32 v52, v42, v50
	v_mul_f16_e64 v14, v212, v1
	s_delay_alu instid0(VALU_DEP_1) | instskip(SKIP_3) | instid1(VALU_DEP_2)
	v_fmac_f16_e32 v14, v91, v2
	s_waitcnt lgkmcnt(0)
	v_lshrrev_b32_e32 v3, 16, v8
	v_mul_f16_e64 v5, v253, v8
	v_mul_f16_e64 v26, v253, v3
	s_delay_alu instid0(VALU_DEP_2)
	v_fma_f16 v25, v54, v3, -v5
	v_mul_f16_e64 v3, v212, v2
	v_lshrrev_b32_e32 v2, 16, v4
	v_mul_f16_e32 v5, v112, v4
	v_fmac_f16_e32 v26, v54, v8
	v_mul_f16_e64 v8, v208, v9
	v_fma_f16 v15, v91, v1, -v3
	v_mul_f16_e32 v16, v112, v2
	s_delay_alu instid0(VALU_DEP_1) | instskip(SKIP_1) | instid1(VALU_DEP_1)
	v_fmac_f16_e32 v16, v92, v4
	v_lshrrev_b32_e32 v4, 16, v9
	v_mul_f16_e64 v17, v208, v4
	v_fma_f16 v19, v93, v4, -v8
	s_delay_alu instid0(VALU_DEP_2)
	v_fmac_f16_e32 v17, v93, v9
	v_fma_f16 v9, v92, v2, -v5
	ds_load_2addr_b32 v[1:2], v192 offset0:64 offset1:184
	s_waitcnt lgkmcnt(0)
	v_lshrrev_b32_e32 v3, 16, v1
	v_mul_f16_e64 v4, v177, v1
	s_delay_alu instid0(VALU_DEP_2) | instskip(NEXT) | instid1(VALU_DEP_2)
	v_mul_f16_e64 v10, v177, v3
	v_fma_f16 v18, v94, v3, -v4
	ds_load_2addr_b32 v[3:4], v134 offset0:48 offset1:168
	v_fmac_f16_e32 v10, v94, v1
	s_waitcnt lgkmcnt(0)
	v_lshrrev_b32_e32 v1, 16, v3
	v_mul_f16_e64 v5, v218, v3
	s_delay_alu instid0(VALU_DEP_2) | instskip(NEXT) | instid1(VALU_DEP_2)
	v_mul_f16_e64 v41, v218, v1
	v_fma_f16 v40, v216, v1, -v5
	v_lshrrev_b32_e32 v1, 16, v4
	s_delay_alu instid0(VALU_DEP_3) | instskip(SKIP_1) | instid1(VALU_DEP_3)
	v_fmac_f16_e64 v41, v216, v3
	v_mul_f16_e64 v3, v229, v4
	v_mul_f16_e64 v8, v229, v1
	s_delay_alu instid0(VALU_DEP_2) | instskip(NEXT) | instid1(VALU_DEP_2)
	v_fma_f16 v11, v223, v1, -v3
	v_fmac_f16_e64 v8, v223, v4
	v_lshrrev_b32_e32 v1, 16, v2
	v_mul_f16_e64 v4, v214, v2
	s_delay_alu instid0(VALU_DEP_2) | instskip(NEXT) | instid1(VALU_DEP_2)
	v_mul_f16_e64 v3, v214, v1
	v_fma_f16 v1, v211, v1, -v4
	ds_load_2addr_b32 v[4:5], v135 offset1:120
	v_fmac_f16_e64 v3, v211, v2
	s_waitcnt lgkmcnt(0)
	v_lshrrev_b32_e32 v2, 16, v4
	s_delay_alu instid0(VALU_DEP_1)
	v_add_f16_e32 v45, v2, v49
	v_fmac_f16_e32 v2, -0.5, v44
	v_add_f16_e32 v44, v4, v48
	v_fma_f16 v4, -0.5, v46, v4
	v_sub_f16_e32 v46, v49, v57
	v_add_f16_e32 v49, v43, v51
	v_add_f16_e32 v45, v45, v57
	;; [unrolled: 1-line block ×3, first 2 shown]
	s_delay_alu instid0(VALU_DEP_4) | instskip(SKIP_2) | instid1(VALU_DEP_1)
	v_fmamk_f16 v48, v46, 0xbaee, v4
	v_fmac_f16_e32 v4, 0x3aee, v46
	v_add_f16_e32 v46, v51, v1
	v_fmac_f16_e32 v43, -0.5, v46
	v_add_f16_e32 v46, v50, v3
	s_delay_alu instid0(VALU_DEP_1) | instskip(SKIP_4) | instid1(VALU_DEP_2)
	v_fmac_f16_e32 v42, -0.5, v46
	v_fmamk_f16 v46, v47, 0x3aee, v2
	v_fmac_f16_e32 v2, 0xbaee, v47
	v_sub_f16_e32 v47, v50, v3
	v_add_f16_e32 v3, v52, v3
	v_fmamk_f16 v50, v47, 0x3aee, v43
	v_fmac_f16_e32 v43, 0xbaee, v47
	v_sub_f16_e32 v47, v51, v1
	v_add_f16_e32 v1, v49, v1
	s_delay_alu instid0(VALU_DEP_4) | instskip(NEXT) | instid1(VALU_DEP_3)
	v_mul_f16_e32 v49, 0.5, v50
	v_fmamk_f16 v51, v47, 0xbaee, v42
	v_fmac_f16_e32 v42, 0x3aee, v47
	v_mul_f16_e32 v47, 0xbaee, v50
	v_mul_f16_e32 v50, 0xbaee, v43
	v_mul_f16_e32 v43, -0.5, v43
	v_fmac_f16_e32 v49, 0x3aee, v51
	s_delay_alu instid0(VALU_DEP_4) | instskip(NEXT) | instid1(VALU_DEP_4)
	v_fmac_f16_e32 v47, 0.5, v51
	v_fmac_f16_e32 v50, -0.5, v42
	s_delay_alu instid0(VALU_DEP_4)
	v_fmac_f16_e32 v43, 0x3aee, v42
	v_add_f16_e32 v42, v44, v3
	v_sub_f16_e32 v3, v44, v3
	v_add_f16_e32 v44, v48, v47
	v_sub_f16_e32 v47, v48, v47
	;; [unrolled: 2-line block ×6, first 2 shown]
	v_pack_b32_f16 v42, v42, v50
	v_pack_b32_f16 v43, v44, v45
	;; [unrolled: 1-line block ×4, first 2 shown]
	v_add_f16_e32 v1, v5, v23
	v_lshrrev_b32_e32 v49, 16, v5
	v_pack_b32_f16 v46, v47, v46
	v_pack_b32_f16 v47, v4, v2
	s_delay_alu instid0(VALU_DEP_4) | instskip(NEXT) | instid1(VALU_DEP_4)
	v_add_f16_e32 v48, v1, v30
	v_add_f16_e32 v1, v49, v37
	s_delay_alu instid0(VALU_DEP_1) | instskip(SKIP_1) | instid1(VALU_DEP_1)
	v_add_f16_e32 v50, v1, v39
	v_add_f16_e32 v1, v27, v35
	;; [unrolled: 1-line block ×4, first 2 shown]
	s_delay_alu instid0(VALU_DEP_1) | instskip(NEXT) | instid1(VALU_DEP_3)
	v_add_f16_e32 v52, v1, v40
	v_add_f16_e32 v1, v48, v51
	s_delay_alu instid0(VALU_DEP_2) | instskip(NEXT) | instid1(VALU_DEP_1)
	v_add_f16_e32 v2, v50, v52
	v_pack_b32_f16 v53, v1, v2
	ds_load_2addr_b32 v[1:2], v154 offset0:112 offset1:232
	ds_load_2addr_b32 v[3:4], v125 offset0:32 offset1:152
	ds_store_b32 v135, v43 offset:2400
	ds_store_b32 v135, v44 offset:4800
	;; [unrolled: 1-line block ×5, first 2 shown]
	ds_store_2addr_b32 v135, v42, v53 offset1:120
	v_add_f16_e32 v42, v23, v30
	v_sub_f16_e32 v23, v23, v30
	v_add_f16_e32 v30, v34, v40
	v_add_f16_e32 v44, v33, v36
	;; [unrolled: 1-line block ×3, first 2 shown]
	v_fmac_f16_e32 v5, -0.5, v42
	v_add_f16_e32 v42, v37, v39
	v_fmac_f16_e32 v29, -0.5, v30
	v_add_f16_e32 v30, v35, v41
	v_sub_f16_e32 v35, v35, v41
	v_add_f16_e32 v41, v38, v13
	v_fmac_f16_e32 v49, -0.5, v42
	v_sub_f16_e32 v37, v37, v39
	v_fmac_f16_e32 v27, -0.5, v30
	v_sub_f16_e32 v30, v34, v40
	v_fmamk_f16 v34, v35, 0x3aee, v29
	v_fmac_f16_e32 v29, 0xbaee, v35
	s_waitcnt lgkmcnt(7)
	v_lshrrev_b32_e32 v40, 16, v1
	v_fmamk_f16 v35, v23, 0x3aee, v49
	v_fmac_f16_e32 v49, 0xbaee, v23
	v_fmamk_f16 v23, v30, 0xbaee, v27
	v_fmac_f16_e32 v27, 0x3aee, v30
	v_add_f16_e32 v42, v40, v38
	v_fmac_f16_e32 v40, -0.5, v41
	v_add_f16_e32 v41, v6, v12
	v_sub_f16_e32 v38, v38, v13
	v_mul_f16_e32 v30, 0xbaee, v29
	v_mul_f16_e32 v29, -0.5, v29
	v_fmamk_f16 v39, v37, 0xbaee, v5
	v_fma_f16 v41, -0.5, v41, v1
	v_fmac_f16_e32 v5, 0x3aee, v37
	v_fmac_f16_e32 v30, -0.5, v27
	v_fmac_f16_e32 v29, 0x3aee, v27
	v_sub_f16_e32 v27, v48, v51
	v_fmamk_f16 v43, v38, 0xbaee, v41
	v_fmac_f16_e32 v41, 0x3aee, v38
	v_add_f16_e32 v38, v36, v11
	v_sub_f16_e32 v37, v50, v52
	v_add_f16_e32 v1, v1, v6
	s_delay_alu instid0(VALU_DEP_3) | instskip(SKIP_3) | instid1(VALU_DEP_3)
	v_fmac_f16_e32 v33, -0.5, v38
	v_add_f16_e32 v38, v32, v8
	v_sub_f16_e32 v32, v32, v8
	v_add_f16_e32 v8, v45, v8
	v_fmac_f16_e32 v22, -0.5, v38
	v_sub_f16_e32 v38, v6, v12
	v_add_f16_e32 v6, v42, v13
	s_delay_alu instid0(VALU_DEP_2)
	v_fmamk_f16 v46, v38, 0x3aee, v40
	v_fmac_f16_e32 v40, 0xbaee, v38
	v_fmamk_f16 v38, v32, 0x3aee, v33
	v_fmac_f16_e32 v33, 0xbaee, v32
	v_sub_f16_e32 v32, v36, v11
	v_add_f16_e32 v11, v44, v11
	s_delay_alu instid0(VALU_DEP_2) | instskip(SKIP_3) | instid1(VALU_DEP_2)
	v_fmamk_f16 v36, v32, 0xbaee, v22
	v_fmac_f16_e32 v22, 0x3aee, v32
	v_mul_f16_e32 v32, 0xbaee, v33
	v_mul_f16_e32 v33, -0.5, v33
	v_fmac_f16_e32 v32, -0.5, v22
	s_delay_alu instid0(VALU_DEP_2)
	v_fmac_f16_e32 v33, 0x3aee, v22
	v_pack_b32_f16 v22, v27, v37
	v_add_f16_e32 v27, v5, v30
	v_add_f16_e32 v37, v49, v29
	v_sub_f16_e32 v5, v5, v30
	v_add_f16_e32 v47, v40, v33
	s_delay_alu instid0(VALU_DEP_3) | instskip(SKIP_1) | instid1(VALU_DEP_1)
	v_pack_b32_f16 v27, v27, v37
	v_add_f16_e32 v37, v41, v32
	v_pack_b32_f16 v37, v37, v47
	ds_store_b32 v135, v22 offset:7680
	ds_store_2addr_b32 v116, v27, v37 offset0:40 offset1:160
	v_mul_f16_e32 v22, 0xbaee, v34
	v_mul_f16_e32 v27, 0.5, v34
	v_mul_f16_e32 v34, 0.5, v38
	s_delay_alu instid0(VALU_DEP_3) | instskip(NEXT) | instid1(VALU_DEP_3)
	v_fmac_f16_e32 v22, 0.5, v23
	v_fmac_f16_e32 v27, 0x3aee, v23
	v_mul_f16_e32 v23, 0xbaee, v38
	s_delay_alu instid0(VALU_DEP_4) | instskip(NEXT) | instid1(VALU_DEP_3)
	v_fmac_f16_e32 v34, 0x3aee, v36
	v_sub_f16_e32 v37, v35, v27
	s_delay_alu instid0(VALU_DEP_3)
	v_fmac_f16_e32 v23, 0.5, v36
	v_sub_f16_e32 v36, v39, v22
	v_add_f16_e32 v22, v39, v22
	v_add_f16_e32 v27, v35, v27
	;; [unrolled: 1-line block ×3, first 2 shown]
	v_sub_f16_e32 v38, v46, v34
	v_pack_b32_f16 v36, v36, v37
	v_sub_f16_e32 v37, v43, v23
	v_add_f16_e32 v23, v43, v23
	v_pack_b32_f16 v22, v22, v27
	v_sub_f16_e32 v27, v40, v33
	v_lshrrev_b32_e32 v33, 16, v198
	v_pack_b32_f16 v37, v37, v38
	v_pack_b32_f16 v23, v23, v30
	ds_store_2addr_b32 v184, v36, v37 offset0:88 offset1:208
	ds_store_2addr_b32 v131, v22, v23 offset0:80 offset1:200
	v_sub_f16_e32 v22, v49, v29
	v_sub_f16_e32 v23, v41, v32
	s_delay_alu instid0(VALU_DEP_2) | instskip(NEXT) | instid1(VALU_DEP_2)
	v_pack_b32_f16 v5, v5, v22
	v_pack_b32_f16 v22, v23, v27
	ds_store_2addr_b32 v134, v5, v22 offset0:48 offset1:168
	v_add_f16_e32 v5, v1, v12
	s_waitcnt lgkmcnt(11)
	v_lshrrev_b32_e32 v1, 16, v3
	v_mul_f16_e64 v12, v175, v3
	s_delay_alu instid0(VALU_DEP_2) | instskip(NEXT) | instid1(VALU_DEP_2)
	v_mul_f16_e64 v13, v175, v1
	v_fma_f16 v12, v173, v1, -v12
	v_add_f16_e32 v1, v5, v8
	v_sub_f16_e32 v5, v5, v8
	v_sub_f16_e32 v8, v28, v31
	v_fmac_f16_e64 v13, v173, v3
	v_add_f16_e32 v3, v6, v11
	v_sub_f16_e32 v6, v6, v11
	s_delay_alu instid0(VALU_DEP_3) | instskip(NEXT) | instid1(VALU_DEP_3)
	v_add_f16_e32 v11, v26, v13
	v_pack_b32_f16 v3, v1, v3
	v_add_f16_e32 v1, v2, v7
	s_delay_alu instid0(VALU_DEP_4) | instskip(NEXT) | instid1(VALU_DEP_2)
	v_pack_b32_f16 v5, v5, v6
	v_add_f16_e32 v27, v1, v20
	v_lshrrev_b32_e32 v1, 16, v2
	s_delay_alu instid0(VALU_DEP_1) | instskip(NEXT) | instid1(VALU_DEP_1)
	v_add_f16_e32 v22, v1, v28
	v_add_f16_e32 v29, v22, v31
	;; [unrolled: 1-line block ×3, first 2 shown]
	v_fmac_f16_e32 v24, -0.5, v11
	s_delay_alu instid0(VALU_DEP_2) | instskip(SKIP_2) | instid1(VALU_DEP_2)
	v_add_f16_e32 v30, v22, v13
	v_add_f16_e32 v22, v21, v25
	v_sub_f16_e32 v13, v26, v13
	v_add_f16_e32 v32, v22, v12
	s_delay_alu instid0(VALU_DEP_4) | instskip(NEXT) | instid1(VALU_DEP_2)
	v_add_f16_e32 v22, v27, v30
	v_add_f16_e32 v23, v29, v32
	s_delay_alu instid0(VALU_DEP_1) | instskip(SKIP_3) | instid1(VALU_DEP_2)
	v_pack_b32_f16 v22, v22, v23
	ds_store_2addr_b32 v154, v3, v22 offset0:112 offset1:232
	v_add_f16_e32 v3, v7, v20
	v_sub_f16_e32 v7, v7, v20
	v_fmac_f16_e32 v2, -0.5, v3
	v_add_f16_e32 v3, v28, v31
	s_delay_alu instid0(VALU_DEP_1) | instskip(SKIP_1) | instid1(VALU_DEP_2)
	v_fmac_f16_e32 v1, -0.5, v3
	v_add_f16_e32 v3, v25, v12
	v_fmamk_f16 v11, v7, 0x3aee, v1
	s_delay_alu instid0(VALU_DEP_2)
	v_fmac_f16_e32 v21, -0.5, v3
	v_fmamk_f16 v3, v8, 0xbaee, v2
	v_fmac_f16_e32 v2, 0x3aee, v8
	v_sub_f16_e32 v8, v25, v12
	v_fmac_f16_e32 v1, 0xbaee, v7
	v_fmamk_f16 v20, v13, 0x3aee, v21
	v_fmac_f16_e32 v21, 0xbaee, v13
	v_sub_f16_e32 v7, v27, v30
	v_fmamk_f16 v22, v8, 0xbaee, v24
	v_fmac_f16_e32 v24, 0x3aee, v8
	v_sub_f16_e32 v8, v29, v32
	v_mul_f16_e32 v23, 0xbaee, v21
	v_mul_f16_e32 v21, -0.5, v21
	v_add_f16_e32 v27, v14, v17
	v_lshrrev_b32_e32 v29, 16, v159
	v_pack_b32_f16 v7, v7, v8
	v_fmac_f16_e32 v23, -0.5, v24
	v_fmac_f16_e32 v21, 0x3aee, v24
	s_delay_alu instid0(VALU_DEP_2) | instskip(NEXT) | instid1(VALU_DEP_2)
	v_add_f16_e32 v6, v2, v23
	v_add_f16_e32 v12, v1, v21
	v_sub_f16_e32 v2, v2, v23
	v_lshrrev_b32_e32 v23, 16, v0
	v_sub_f16_e32 v1, v1, v21
	s_delay_alu instid0(VALU_DEP_4)
	v_pack_b32_f16 v6, v6, v12
	ds_store_b32 v135, v6 offset:6240
	ds_store_2addr_b32 v82, v5, v7 offset0:120 offset1:240
	scratch_load_b32 v26, off, off offset:184 ; 4-byte Folded Reload
	v_mad_u64_u32 v[5:6], null, s10, v151, 0
	v_pack_b32_f16 v1, v2, v1
	s_delay_alu instid0(VALU_DEP_2) | instskip(SKIP_2) | instid1(VALU_DEP_1)
	v_mad_u64_u32 v[7:8], null, s11, v151, v[6:7]
	s_mov_b32 s10, 0x789abcdf
	s_mov_b32 s11, 0x3f323456
	v_mov_b32_e32 v6, v7
	v_mad_u64_u32 v[7:8], null, s8, v155, 0
	s_delay_alu instid0(VALU_DEP_2) | instskip(NEXT) | instid1(VALU_DEP_2)
	v_lshlrev_b64 v[5:6], 2, v[5:6]
	v_mad_u64_u32 v[12:13], null, s9, v155, v[8:9]
	s_delay_alu instid0(VALU_DEP_1) | instskip(SKIP_2) | instid1(VALU_DEP_1)
	v_mov_b32_e32 v8, v12
	s_waitcnt vmcnt(0)
	v_mad_u64_u32 v[12:13], null, s8, v26, 0
	v_mad_u64_u32 v[24:25], null, s9, v26, v[13:14]
	v_add_f16_e32 v26, v15, v19
	s_delay_alu instid0(VALU_DEP_2) | instskip(SKIP_3) | instid1(VALU_DEP_4)
	v_mov_b32_e32 v13, v24
	v_add_co_u32 v24, vcc_lo, s0, v5
	v_add_co_ci_u32_e32 v25, vcc_lo, s1, v6, vcc_lo
	v_lshlrev_b64 v[5:6], 2, v[7:8]
	v_lshlrev_b64 v[7:8], 2, v[12:13]
	s_delay_alu instid0(VALU_DEP_2) | instskip(NEXT) | instid1(VALU_DEP_3)
	v_add_co_u32 v5, vcc_lo, v24, v5
	v_add_co_ci_u32_e32 v6, vcc_lo, v25, v6, vcc_lo
	s_delay_alu instid0(VALU_DEP_3) | instskip(SKIP_3) | instid1(VALU_DEP_3)
	v_add_co_u32 v12, vcc_lo, v24, v7
	v_lshrrev_b32_e32 v7, 16, v4
	v_add_co_ci_u32_e32 v13, vcc_lo, v25, v8, vcc_lo
	v_mul_f16_e64 v24, v194, v4
	v_mul_f16_e64 v8, v194, v7
	s_delay_alu instid0(VALU_DEP_1) | instskip(NEXT) | instid1(VALU_DEP_3)
	v_fmac_f16_e64 v8, v156, v4
	v_fma_f16 v4, v156, v7, -v24
	v_add_f16_e32 v7, v16, v10
	v_add_f16_e32 v24, v0, v16
	s_delay_alu instid0(VALU_DEP_2) | instskip(SKIP_1) | instid1(VALU_DEP_1)
	v_fmac_f16_e32 v0, -0.5, v7
	v_sub_f16_e32 v7, v9, v18
	v_fmamk_f16 v25, v7, 0xbaee, v0
	v_fmac_f16_e32 v0, 0x3aee, v7
	v_add_f16_e32 v7, v19, v4
	s_delay_alu instid0(VALU_DEP_1) | instskip(SKIP_1) | instid1(VALU_DEP_1)
	v_fmac_f16_e32 v15, -0.5, v7
	v_add_f16_e32 v7, v17, v8
	v_fmac_f16_e32 v14, -0.5, v7
	v_sub_f16_e32 v7, v17, v8
	v_add_f16_e32 v8, v27, v8
	s_delay_alu instid0(VALU_DEP_2) | instskip(SKIP_3) | instid1(VALU_DEP_2)
	v_fmamk_f16 v17, v7, 0x3aee, v15
	v_fmac_f16_e32 v15, 0xbaee, v7
	v_sub_f16_e32 v7, v19, v4
	v_add_f16_e32 v4, v26, v4
	v_fmamk_f16 v19, v7, 0xbaee, v14
	v_fmac_f16_e32 v14, 0x3aee, v7
	v_mul_f16_e32 v7, 0xbaee, v15
	s_delay_alu instid0(VALU_DEP_1) | instskip(NEXT) | instid1(VALU_DEP_1)
	v_fmac_f16_e32 v7, -0.5, v14
	v_add_f16_e32 v28, v0, v7
	v_sub_f16_e32 v0, v0, v7
	v_mul_f16_e32 v7, 0xbaee, v20
	v_mul_f16_e32 v20, 0.5, v20
	s_delay_alu instid0(VALU_DEP_2) | instskip(NEXT) | instid1(VALU_DEP_2)
	v_fmac_f16_e32 v7, 0.5, v22
	v_fmac_f16_e32 v20, 0x3aee, v22
	s_delay_alu instid0(VALU_DEP_2) | instskip(SKIP_1) | instid1(VALU_DEP_3)
	v_add_f16_e32 v22, v3, v7
	v_sub_f16_e32 v3, v3, v7
	v_add_f16_e32 v7, v11, v20
	v_sub_f16_e32 v11, v11, v20
	v_add_f16_e32 v20, v9, v18
	v_add_f16_e32 v9, v23, v9
	s_delay_alu instid0(VALU_DEP_4) | instskip(NEXT) | instid1(VALU_DEP_4)
	v_pack_b32_f16 v7, v22, v7
	v_pack_b32_f16 v2, v3, v11
	s_delay_alu instid0(VALU_DEP_4)
	v_fmac_f16_e32 v23, -0.5, v20
	v_add_f16_e32 v20, v24, v10
	v_add_f16_e32 v9, v9, v18
	v_sub_f16_e32 v10, v16, v10
	v_mul_f16_e32 v16, 0xbaee, v17
	v_mul_f16_e32 v17, 0.5, v17
	v_add_f16_e32 v3, v20, v8
	v_add_f16_e32 v11, v9, v4
	v_sub_f16_e32 v4, v9, v4
	v_fmac_f16_e32 v16, 0.5, v19
	v_fmac_f16_e32 v17, 0x3aee, v19
	v_lshrrev_b32_e32 v22, 16, v157
	v_pack_b32_f16 v3, v3, v11
	v_fmamk_f16 v11, v10, 0x3aee, v23
	v_add_f16_e32 v18, v25, v16
	v_fmac_f16_e32 v23, 0xbaee, v10
	s_delay_alu instid0(VALU_DEP_3) | instskip(NEXT) | instid1(VALU_DEP_1)
	v_add_f16_e32 v19, v11, v17
	v_pack_b32_f16 v18, v18, v19
	ds_store_b32 v135, v1 offset:13440
	ds_store_b32 v135, v2 offset:11040
	;; [unrolled: 1-line block ×3, first 2 shown]
	ds_store_2addr_b32 v153, v7, v18 offset0:64 offset1:184
	v_mul_f16_e32 v1, -0.5, v15
	v_sub_f16_e32 v2, v20, v8
	v_sub_f16_e32 v3, v25, v16
	v_sub_f16_e32 v7, v11, v17
	v_lshrrev_b32_e32 v20, 16, v152
	v_fmac_f16_e32 v1, 0x3aee, v14
	v_pack_b32_f16 v2, v2, v4
	s_delay_alu instid0(VALU_DEP_4) | instskip(NEXT) | instid1(VALU_DEP_3)
	v_pack_b32_f16 v3, v3, v7
	v_add_f16_e32 v8, v23, v1
	v_sub_f16_e32 v1, v23, v1
	s_delay_alu instid0(VALU_DEP_2) | instskip(NEXT) | instid1(VALU_DEP_2)
	v_pack_b32_f16 v8, v28, v8
	v_pack_b32_f16 v0, v0, v1
	ds_store_b32 v135, v8 offset:6720
	ds_store_b32 v135, v2 offset:9120
	;; [unrolled: 1-line block ×4, first 2 shown]
	s_waitcnt lgkmcnt(0)
	s_barrier
	buffer_gl0_inv
	ds_load_2addr_b32 v[0:1], v135 offset1:120
	s_clause 0x6
	scratch_load_b32 v38, off, off offset:164
	scratch_load_b32 v42, off, off offset:156
	;; [unrolled: 1-line block ×7, first 2 shown]
	s_waitcnt lgkmcnt(0)
	v_lshrrev_b32_e32 v4, 16, v0
	v_mul_f16_e32 v2, v20, v0
	s_delay_alu instid0(VALU_DEP_1) | instskip(SKIP_1) | instid1(VALU_DEP_2)
	v_fma_f16 v2, v152, v4, -v2
	v_mul_f16_e32 v4, v20, v4
	v_cvt_f32_f16_e32 v2, v2
	s_delay_alu instid0(VALU_DEP_2) | instskip(NEXT) | instid1(VALU_DEP_2)
	v_fmac_f16_e64 v4, v152, v0
	v_cvt_f64_f32_e32 v[2:3], v2
	s_delay_alu instid0(VALU_DEP_2) | instskip(NEXT) | instid1(VALU_DEP_2)
	v_cvt_f32_f16_e32 v0, v4
	v_mul_f64 v[2:3], v[2:3], s[10:11]
	s_delay_alu instid0(VALU_DEP_1) | instskip(SKIP_1) | instid1(VALU_DEP_2)
	v_and_or_b32 v2, 0x1ff, v3, v2
	v_lshrrev_b32_e32 v7, 8, v3
	v_cmp_ne_u32_e32 vcc_lo, 0, v2
	v_cndmask_b32_e64 v2, 0, 1, vcc_lo
	s_delay_alu instid0(VALU_DEP_1) | instskip(SKIP_2) | instid1(VALU_DEP_3)
	v_and_or_b32 v2, 0xffe, v7, v2
	v_bfe_u32 v7, v3, 20, 11
	v_lshrrev_b32_e32 v3, 16, v3
	v_or_b32_e32 v9, 0x1000, v2
	s_delay_alu instid0(VALU_DEP_3) | instskip(SKIP_1) | instid1(VALU_DEP_2)
	v_sub_nc_u32_e32 v8, 0x3f1, v7
	v_add_nc_u32_e32 v7, 0xfffffc10, v7
	v_med3_i32 v8, v8, 0, 13
	s_delay_alu instid0(VALU_DEP_1) | instskip(NEXT) | instid1(VALU_DEP_1)
	v_lshrrev_b32_e32 v16, v8, v9
	v_lshlrev_b32_e32 v8, v8, v16
	s_delay_alu instid0(VALU_DEP_1) | instskip(SKIP_4) | instid1(VALU_DEP_1)
	v_cmp_ne_u32_e32 vcc_lo, v8, v9
	ds_load_2addr_b32 v[8:9], v154 offset0:112 offset1:232
	s_waitcnt lgkmcnt(0)
	v_lshrrev_b32_e32 v17, 16, v9
	v_mul_f16_e32 v10, v22, v9
	v_fma_f16 v10, v157, v17, -v10
	s_delay_alu instid0(VALU_DEP_1) | instskip(NEXT) | instid1(VALU_DEP_1)
	v_cvt_f32_f16_e32 v10, v10
	v_cvt_f64_f32_e32 v[10:11], v10
	s_delay_alu instid0(VALU_DEP_1) | instskip(NEXT) | instid1(VALU_DEP_1)
	v_mul_f64 v[14:15], v[10:11], s[10:11]
	v_and_or_b32 v10, 0x1ff, v15, v14
	v_lshrrev_b32_e32 v11, 8, v15
	v_bfe_u32 v18, v15, 20, 11
	s_delay_alu instid0(VALU_DEP_3) | instskip(NEXT) | instid1(VALU_DEP_1)
	v_cmp_ne_u32_e64 s0, 0, v10
	v_cndmask_b32_e64 v10, 0, 1, s0
	s_delay_alu instid0(VALU_DEP_1) | instskip(NEXT) | instid1(VALU_DEP_4)
	v_and_or_b32 v14, 0xffe, v11, v10
	v_sub_nc_u32_e32 v10, 0x3f1, v18
	s_delay_alu instid0(VALU_DEP_2) | instskip(NEXT) | instid1(VALU_DEP_2)
	v_or_b32_e32 v11, 0x1000, v14
	v_med3_i32 v10, v10, 0, 13
	s_delay_alu instid0(VALU_DEP_1) | instskip(NEXT) | instid1(VALU_DEP_1)
	v_lshrrev_b32_e32 v19, v10, v11
	v_lshlrev_b32_e32 v10, v10, v19
	s_delay_alu instid0(VALU_DEP_1) | instskip(SKIP_1) | instid1(VALU_DEP_1)
	v_cmp_ne_u32_e64 s0, v10, v11
	v_cvt_f64_f32_e32 v[10:11], v0
	v_mul_f64 v[10:11], v[10:11], s[10:11]
	s_delay_alu instid0(VALU_DEP_1) | instskip(SKIP_1) | instid1(VALU_DEP_2)
	v_and_or_b32 v0, 0x1ff, v11, v10
	v_lshrrev_b32_e32 v4, 8, v11
	v_cmp_ne_u32_e64 s1, 0, v0
	s_delay_alu instid0(VALU_DEP_1) | instskip(NEXT) | instid1(VALU_DEP_1)
	v_cndmask_b32_e64 v0, 0, 1, s1
	v_and_or_b32 v0, 0xffe, v4, v0
	v_bfe_u32 v4, v11, 20, 11
	s_delay_alu instid0(VALU_DEP_2) | instskip(NEXT) | instid1(VALU_DEP_2)
	v_or_b32_e32 v20, 0x1000, v0
	v_sub_nc_u32_e32 v10, 0x3f1, v4
	v_add_nc_u32_e32 v4, 0xfffffc10, v4
	v_cmp_ne_u32_e64 s2, 0, v0
	s_delay_alu instid0(VALU_DEP_3) | instskip(NEXT) | instid1(VALU_DEP_1)
	v_med3_i32 v10, v10, 0, 13
	v_lshrrev_b32_e32 v21, v10, v20
	s_delay_alu instid0(VALU_DEP_1) | instskip(NEXT) | instid1(VALU_DEP_1)
	v_lshlrev_b32_e32 v10, v10, v21
	v_cmp_ne_u32_e64 s1, v10, v20
	v_lshl_or_b32 v20, v4, 12, v0
	s_delay_alu instid0(VALU_DEP_2) | instskip(SKIP_1) | instid1(VALU_DEP_2)
	v_cndmask_b32_e64 v10, 0, 1, s1
	v_cmp_gt_i32_e64 s1, 1, v4
	v_or_b32_e32 v10, v21, v10
	s_delay_alu instid0(VALU_DEP_1) | instskip(SKIP_2) | instid1(VALU_DEP_2)
	v_cndmask_b32_e64 v10, v20, v10, s1
	v_cndmask_b32_e64 v20, 0, 1, vcc_lo
	v_cmp_gt_i32_e32 vcc_lo, 1, v7
	v_or_b32_e32 v16, v16, v20
	v_lshl_or_b32 v20, v7, 12, v2
	s_delay_alu instid0(VALU_DEP_1) | instskip(SKIP_1) | instid1(VALU_DEP_2)
	v_cndmask_b32_e32 v16, v20, v16, vcc_lo
	v_and_b32_e32 v20, 7, v10
	v_and_b32_e32 v0, 7, v16
	s_delay_alu instid0(VALU_DEP_2) | instskip(SKIP_1) | instid1(VALU_DEP_3)
	v_cmp_lt_i32_e32 vcc_lo, 5, v20
	v_cmp_eq_u32_e64 s1, 3, v20
	v_cmp_lt_i32_e64 s3, 5, v0
	v_cmp_eq_u32_e64 s4, 3, v0
	v_lshrrev_b32_e32 v0, 2, v10
	s_delay_alu instid0(VALU_DEP_4) | instskip(SKIP_1) | instid1(VALU_DEP_3)
	s_or_b32 vcc_lo, s1, vcc_lo
	v_cndmask_b32_e64 v10, 0, 1, s2
	s_or_b32 s1, s4, s3
	s_delay_alu instid0(VALU_DEP_2) | instskip(SKIP_1) | instid1(VALU_DEP_3)
	v_add_co_ci_u32_e32 v0, vcc_lo, 0, v0, vcc_lo
	v_cmp_gt_i32_e32 vcc_lo, 31, v4
	v_lshl_or_b32 v10, v10, 9, 0x7c00
	s_delay_alu instid0(VALU_DEP_3) | instskip(SKIP_2) | instid1(VALU_DEP_3)
	v_cndmask_b32_e32 v0, 0x7c00, v0, vcc_lo
	v_cmp_eq_u32_e32 vcc_lo, 0x40f, v4
	v_lshrrev_b32_e32 v4, 16, v11
	v_cndmask_b32_e32 v0, v0, v10, vcc_lo
	v_cmp_ne_u32_e32 vcc_lo, 0, v2
	v_lshrrev_b32_e32 v2, 2, v16
	s_delay_alu instid0(VALU_DEP_3) | instskip(SKIP_1) | instid1(VALU_DEP_3)
	v_and_or_b32 v0, 0x8000, v4, v0
	v_cndmask_b32_e64 v10, 0, 1, vcc_lo
	v_add_co_ci_u32_e64 v2, s1, 0, v2, s1
	v_cmp_gt_i32_e64 s1, 31, v7
	v_cmp_eq_u32_e32 vcc_lo, 0x40f, v7
	s_delay_alu instid0(VALU_DEP_4) | instskip(SKIP_1) | instid1(VALU_DEP_4)
	v_lshl_or_b32 v10, v10, 9, 0x7c00
	v_and_b32_e32 v0, 0xffff, v0
	v_cndmask_b32_e64 v2, 0x7c00, v2, s1
	s_mul_i32 s1, s9, 0x5a0
	s_delay_alu instid0(SALU_CYCLE_1) | instskip(NEXT) | instid1(VALU_DEP_1)
	s_add_i32 s12, s12, s1
	v_cndmask_b32_e32 v2, v2, v10, vcc_lo
	ds_load_2addr_b32 v[10:11], v131 offset0:80 offset1:200
	v_and_or_b32 v2, 0x8000, v3, v2
	s_delay_alu instid0(VALU_DEP_1)
	v_lshl_or_b32 v0, v2, 16, v0
	v_add_co_u32 v2, vcc_lo, v5, s13
	v_add_co_ci_u32_e32 v3, vcc_lo, s12, v6, vcc_lo
	global_store_b32 v[5:6], v0, off
	s_waitcnt lgkmcnt(0)
	v_lshrrev_b32_e32 v0, 16, v10
	v_mul_f16_e32 v4, v29, v10
	s_delay_alu instid0(VALU_DEP_1) | instskip(SKIP_1) | instid1(VALU_DEP_2)
	v_fma_f16 v4, v159, v0, -v4
	v_mul_f16_e32 v0, v29, v0
	v_cvt_f32_f16_e32 v4, v4
	s_delay_alu instid0(VALU_DEP_2) | instskip(NEXT) | instid1(VALU_DEP_2)
	v_fmac_f16_e64 v0, v159, v10
	v_cvt_f64_f32_e32 v[4:5], v4
	s_delay_alu instid0(VALU_DEP_2) | instskip(NEXT) | instid1(VALU_DEP_2)
	v_cvt_f32_f16_e32 v0, v0
	v_mul_f64 v[4:5], v[4:5], s[10:11]
	s_delay_alu instid0(VALU_DEP_1) | instskip(SKIP_2) | instid1(VALU_DEP_3)
	v_and_or_b32 v4, 0x1ff, v5, v4
	v_lshrrev_b32_e32 v6, 8, v5
	v_bfe_u32 v20, v5, 20, 11
	v_cmp_ne_u32_e32 vcc_lo, 0, v4
	v_cndmask_b32_e64 v4, 0, 1, vcc_lo
	s_delay_alu instid0(VALU_DEP_1) | instskip(NEXT) | instid1(VALU_DEP_4)
	v_and_or_b32 v4, 0xffe, v6, v4
	v_sub_nc_u32_e32 v6, 0x3f1, v20
	s_delay_alu instid0(VALU_DEP_2) | instskip(NEXT) | instid1(VALU_DEP_2)
	v_or_b32_e32 v7, 0x1000, v4
	v_med3_i32 v6, v6, 0, 13
	s_delay_alu instid0(VALU_DEP_1) | instskip(NEXT) | instid1(VALU_DEP_1)
	v_lshrrev_b32_e32 v21, v6, v7
	v_lshlrev_b32_e32 v6, v6, v21
	s_delay_alu instid0(VALU_DEP_1) | instskip(SKIP_1) | instid1(VALU_DEP_1)
	v_cmp_ne_u32_e32 vcc_lo, v6, v7
	v_mul_f16_e32 v6, v22, v17
	v_fmac_f16_e64 v6, v157, v9
	s_delay_alu instid0(VALU_DEP_1) | instskip(NEXT) | instid1(VALU_DEP_1)
	v_cvt_f32_f16_e32 v6, v6
	v_cvt_f64_f32_e32 v[6:7], v6
	s_delay_alu instid0(VALU_DEP_1) | instskip(NEXT) | instid1(VALU_DEP_1)
	v_mul_f64 v[6:7], v[6:7], s[10:11]
	v_and_or_b32 v6, 0x1ff, v7, v6
	v_lshrrev_b32_e32 v9, 8, v7
	s_delay_alu instid0(VALU_DEP_2) | instskip(NEXT) | instid1(VALU_DEP_1)
	v_cmp_ne_u32_e64 s1, 0, v6
	v_cndmask_b32_e64 v6, 0, 1, s1
	s_delay_alu instid0(VALU_DEP_1) | instskip(SKIP_2) | instid1(VALU_DEP_3)
	v_and_or_b32 v6, 0xffe, v9, v6
	v_bfe_u32 v9, v7, 20, 11
	v_lshrrev_b32_e32 v7, 16, v7
	v_or_b32_e32 v17, 0x1000, v6
	s_delay_alu instid0(VALU_DEP_3) | instskip(SKIP_1) | instid1(VALU_DEP_2)
	v_sub_nc_u32_e32 v16, 0x3f1, v9
	v_add_nc_u32_e32 v9, 0xfffffc10, v9
	v_med3_i32 v16, v16, 0, 13
	s_delay_alu instid0(VALU_DEP_1) | instskip(NEXT) | instid1(VALU_DEP_1)
	v_lshrrev_b32_e32 v22, v16, v17
	v_lshlrev_b32_e32 v16, v16, v22
	s_delay_alu instid0(VALU_DEP_1) | instskip(SKIP_1) | instid1(VALU_DEP_2)
	v_cmp_ne_u32_e64 s1, v16, v17
	v_lshl_or_b32 v17, v9, 12, v6
	v_cndmask_b32_e64 v16, 0, 1, s1
	v_cmp_gt_i32_e64 s1, 1, v9
	s_delay_alu instid0(VALU_DEP_2) | instskip(NEXT) | instid1(VALU_DEP_1)
	v_or_b32_e32 v16, v22, v16
	v_cndmask_b32_e64 v16, v17, v16, s1
	s_delay_alu instid0(VALU_DEP_1) | instskip(SKIP_1) | instid1(VALU_DEP_2)
	v_and_b32_e32 v17, 7, v16
	v_lshrrev_b32_e32 v16, 2, v16
	v_cmp_lt_i32_e64 s1, 5, v17
	v_cmp_eq_u32_e64 s2, 3, v17
	v_cndmask_b32_e64 v17, 0, 1, s0
	v_cmp_ne_u32_e64 s0, 0, v6
	v_add_nc_u32_e32 v6, 0xfffffc10, v18
	s_delay_alu instid0(VALU_DEP_4) | instskip(NEXT) | instid1(VALU_DEP_3)
	s_or_b32 s1, s2, s1
	v_or_b32_e32 v17, v19, v17
	v_add_co_ci_u32_e64 v16, s1, 0, v16, s1
	s_delay_alu instid0(VALU_DEP_3) | instskip(SKIP_3) | instid1(VALU_DEP_3)
	v_lshl_or_b32 v18, v6, 12, v14
	v_cmp_gt_i32_e64 s3, 1, v6
	v_cmp_gt_i32_e64 s1, 31, v9
	v_cmp_ne_u32_e64 s2, 0, v14
	v_cndmask_b32_e64 v17, v18, v17, s3
	v_cndmask_b32_e64 v18, 0, 1, s0
	s_delay_alu instid0(VALU_DEP_4) | instskip(SKIP_1) | instid1(VALU_DEP_4)
	v_cndmask_b32_e64 v16, 0x7c00, v16, s1
	v_cmp_eq_u32_e64 s0, 0x40f, v9
	v_lshrrev_b32_e32 v14, 2, v17
	s_delay_alu instid0(VALU_DEP_4) | instskip(NEXT) | instid1(VALU_DEP_1)
	v_lshl_or_b32 v18, v18, 9, 0x7c00
	v_cndmask_b32_e64 v9, v16, v18, s0
	v_and_b32_e32 v16, 7, v17
	s_delay_alu instid0(VALU_DEP_2) | instskip(NEXT) | instid1(VALU_DEP_2)
	v_and_or_b32 v7, 0x8000, v7, v9
	v_cmp_lt_i32_e64 s0, 5, v16
	v_cmp_eq_u32_e64 s1, 3, v16
	v_cndmask_b32_e64 v16, 0, 1, s2
	s_delay_alu instid0(VALU_DEP_4) | instskip(NEXT) | instid1(VALU_DEP_3)
	v_and_b32_e32 v7, 0xffff, v7
	s_or_b32 s0, s1, s0
	s_delay_alu instid0(VALU_DEP_2) | instskip(SKIP_2) | instid1(VALU_DEP_1)
	v_lshl_or_b32 v16, v16, 9, 0x7c00
	v_add_co_ci_u32_e64 v14, s0, 0, v14, s0
	v_cmp_gt_i32_e64 s0, 31, v6
	v_cndmask_b32_e64 v14, 0x7c00, v14, s0
	v_cmp_eq_u32_e64 s0, 0x40f, v6
	s_delay_alu instid0(VALU_DEP_1) | instskip(SKIP_1) | instid1(VALU_DEP_1)
	v_cndmask_b32_e64 v6, v14, v16, s0
	v_lshrrev_b32_e32 v14, 16, v15
	v_and_or_b32 v6, 0x8000, v14, v6
	scratch_load_b32 v14, off, off offset:176 ; 4-byte Folded Reload
	v_lshl_or_b32 v6, v6, 16, v7
	global_store_b32 v[2:3], v6, off
	ds_load_2addr_b32 v[6:7], v153 offset0:64 offset1:184
	v_add_co_u32 v2, s0, v2, s13
	s_delay_alu instid0(VALU_DEP_1)
	v_add_co_ci_u32_e64 v3, s0, s12, v3, s0
	s_waitcnt lgkmcnt(0)
	v_lshrrev_b32_e32 v19, 16, v7
	s_waitcnt vmcnt(0)
	v_lshrrev_b32_e32 v31, 16, v14
	v_mov_b32_e32 v34, v14
	s_delay_alu instid0(VALU_DEP_2) | instskip(NEXT) | instid1(VALU_DEP_1)
	v_mul_f16_e32 v9, v31, v7
	v_fma_f16 v9, v14, v19, -v9
	s_delay_alu instid0(VALU_DEP_1) | instskip(NEXT) | instid1(VALU_DEP_1)
	v_cvt_f32_f16_e32 v9, v9
	v_cvt_f64_f32_e32 v[14:15], v9
	s_delay_alu instid0(VALU_DEP_1) | instskip(NEXT) | instid1(VALU_DEP_1)
	v_mul_f64 v[15:16], v[14:15], s[10:11]
	v_and_or_b32 v9, 0x1ff, v16, v15
	v_lshrrev_b32_e32 v14, 8, v16
	v_bfe_u32 v23, v16, 20, 11
	v_lshrrev_b32_e32 v16, 16, v16
	s_delay_alu instid0(VALU_DEP_4) | instskip(NEXT) | instid1(VALU_DEP_1)
	v_cmp_ne_u32_e64 s0, 0, v9
	v_cndmask_b32_e64 v9, 0, 1, s0
	s_delay_alu instid0(VALU_DEP_1) | instskip(SKIP_1) | instid1(VALU_DEP_2)
	v_and_or_b32 v22, 0xffe, v14, v9
	v_sub_nc_u32_e32 v9, 0x3f1, v23
	v_or_b32_e32 v14, 0x1000, v22
	s_delay_alu instid0(VALU_DEP_2) | instskip(NEXT) | instid1(VALU_DEP_1)
	v_med3_i32 v9, v9, 0, 13
	v_lshrrev_b32_e32 v24, v9, v14
	s_delay_alu instid0(VALU_DEP_1) | instskip(NEXT) | instid1(VALU_DEP_1)
	v_lshlrev_b32_e32 v9, v9, v24
	v_cmp_ne_u32_e64 s1, v9, v14
	ds_load_2addr_b32 v[14:15], v187 offset0:32 offset1:152
	s_waitcnt lgkmcnt(0)
	v_lshrrev_b32_e32 v25, 16, v14
	v_mul_f16_e32 v9, v33, v14
	s_delay_alu instid0(VALU_DEP_1) | instskip(NEXT) | instid1(VALU_DEP_1)
	v_fma_f16 v9, v198, v25, -v9
	v_cvt_f32_f16_e32 v9, v9
	s_delay_alu instid0(VALU_DEP_1) | instskip(NEXT) | instid1(VALU_DEP_1)
	v_cvt_f64_f32_e32 v[17:18], v9
	v_mul_f64 v[17:18], v[17:18], s[10:11]
	s_delay_alu instid0(VALU_DEP_1) | instskip(SKIP_2) | instid1(VALU_DEP_3)
	v_and_or_b32 v9, 0x1ff, v18, v17
	v_lshrrev_b32_e32 v17, 8, v18
	v_bfe_u32 v27, v18, 20, 11
	v_cmp_ne_u32_e64 s0, 0, v9
	s_delay_alu instid0(VALU_DEP_1) | instskip(NEXT) | instid1(VALU_DEP_1)
	v_cndmask_b32_e64 v9, 0, 1, s0
	v_and_or_b32 v26, 0xffe, v17, v9
	s_delay_alu instid0(VALU_DEP_4) | instskip(NEXT) | instid1(VALU_DEP_2)
	v_sub_nc_u32_e32 v9, 0x3f1, v27
	v_or_b32_e32 v17, 0x1000, v26
	s_delay_alu instid0(VALU_DEP_2) | instskip(NEXT) | instid1(VALU_DEP_1)
	v_med3_i32 v9, v9, 0, 13
	v_lshrrev_b32_e32 v28, v9, v17
	s_delay_alu instid0(VALU_DEP_1) | instskip(NEXT) | instid1(VALU_DEP_1)
	v_lshlrev_b32_e32 v9, v9, v28
	v_cmp_ne_u32_e64 s0, v9, v17
	v_cvt_f64_f32_e32 v[9:10], v0
	s_delay_alu instid0(VALU_DEP_1) | instskip(NEXT) | instid1(VALU_DEP_1)
	v_mul_f64 v[9:10], v[9:10], s[10:11]
	v_and_or_b32 v0, 0x1ff, v10, v9
	v_lshrrev_b32_e32 v9, 8, v10
	s_delay_alu instid0(VALU_DEP_2) | instskip(NEXT) | instid1(VALU_DEP_1)
	v_cmp_ne_u32_e64 s2, 0, v0
	v_cndmask_b32_e64 v0, 0, 1, s2
	s_delay_alu instid0(VALU_DEP_1) | instskip(SKIP_2) | instid1(VALU_DEP_3)
	v_and_or_b32 v0, 0xffe, v9, v0
	v_bfe_u32 v9, v10, 20, 11
	v_lshrrev_b32_e32 v10, 16, v10
	v_or_b32_e32 v29, 0x1000, v0
	s_delay_alu instid0(VALU_DEP_3) | instskip(SKIP_1) | instid1(VALU_DEP_2)
	v_sub_nc_u32_e32 v17, 0x3f1, v9
	v_add_nc_u32_e32 v9, 0xfffffc10, v9
	v_med3_i32 v17, v17, 0, 13
	s_delay_alu instid0(VALU_DEP_1) | instskip(NEXT) | instid1(VALU_DEP_1)
	v_lshrrev_b32_e32 v30, v17, v29
	v_lshlrev_b32_e32 v17, v17, v30
	s_delay_alu instid0(VALU_DEP_1) | instskip(SKIP_1) | instid1(VALU_DEP_2)
	v_cmp_ne_u32_e64 s2, v17, v29
	v_lshl_or_b32 v29, v9, 12, v0
	v_cndmask_b32_e64 v17, 0, 1, s2
	v_cmp_gt_i32_e64 s2, 1, v9
	s_delay_alu instid0(VALU_DEP_2) | instskip(NEXT) | instid1(VALU_DEP_1)
	v_or_b32_e32 v17, v30, v17
	v_cndmask_b32_e64 v17, v29, v17, s2
	s_delay_alu instid0(VALU_DEP_1) | instskip(SKIP_1) | instid1(VALU_DEP_2)
	v_and_b32_e32 v29, 7, v17
	v_lshrrev_b32_e32 v17, 2, v17
	v_cmp_lt_i32_e64 s2, 5, v29
	v_cmp_eq_u32_e64 s3, 3, v29
	v_cndmask_b32_e64 v29, 0, 1, vcc_lo
	v_cmp_ne_u32_e32 vcc_lo, 0, v0
	v_add_nc_u32_e32 v0, 0xfffffc10, v20
	s_delay_alu instid0(VALU_DEP_4) | instskip(NEXT) | instid1(VALU_DEP_3)
	s_or_b32 s2, s3, s2
	v_or_b32_e32 v21, v21, v29
	v_add_co_ci_u32_e64 v17, s2, 0, v17, s2
	s_delay_alu instid0(VALU_DEP_3) | instskip(SKIP_3) | instid1(VALU_DEP_3)
	v_lshl_or_b32 v20, v0, 12, v4
	v_cmp_gt_i32_e64 s4, 1, v0
	v_cmp_gt_i32_e64 s2, 31, v9
	v_cmp_ne_u32_e64 s3, 0, v4
	v_cndmask_b32_e64 v20, v20, v21, s4
	v_cndmask_b32_e64 v21, 0, 1, vcc_lo
	s_delay_alu instid0(VALU_DEP_4) | instskip(SKIP_1) | instid1(VALU_DEP_4)
	v_cndmask_b32_e64 v17, 0x7c00, v17, s2
	v_cmp_eq_u32_e32 vcc_lo, 0x40f, v9
	v_lshrrev_b32_e32 v4, 2, v20
	s_delay_alu instid0(VALU_DEP_4) | instskip(NEXT) | instid1(VALU_DEP_1)
	v_lshl_or_b32 v21, v21, 9, 0x7c00
	v_cndmask_b32_e32 v9, v17, v21, vcc_lo
	v_and_b32_e32 v17, 7, v20
	s_delay_alu instid0(VALU_DEP_1) | instskip(SKIP_2) | instid1(VALU_DEP_2)
	v_cmp_lt_i32_e32 vcc_lo, 5, v17
	v_cmp_eq_u32_e64 s2, 3, v17
	v_cndmask_b32_e64 v17, 0, 1, s3
	s_or_b32 vcc_lo, s2, vcc_lo
	s_delay_alu instid0(VALU_DEP_1) | instskip(SKIP_2) | instid1(VALU_DEP_2)
	v_lshl_or_b32 v17, v17, 9, 0x7c00
	v_add_co_ci_u32_e32 v4, vcc_lo, 0, v4, vcc_lo
	v_cmp_gt_i32_e32 vcc_lo, 31, v0
	v_cndmask_b32_e32 v4, 0x7c00, v4, vcc_lo
	v_cmp_eq_u32_e32 vcc_lo, 0x40f, v0
	s_delay_alu instid0(VALU_DEP_2)
	v_cndmask_b32_e32 v0, v4, v17, vcc_lo
	v_lshrrev_b32_e32 v4, 16, v5
	v_and_or_b32 v5, 0x8000, v10, v9
	scratch_load_b32 v10, off, off offset:180 ; 4-byte Folded Reload
	v_and_or_b32 v0, 0x8000, v4, v0
	v_and_b32_e32 v4, 0xffff, v5
	s_delay_alu instid0(VALU_DEP_1)
	v_lshl_or_b32 v0, v0, 16, v4
	ds_load_2addr_b32 v[4:5], v142 offset0:16 offset1:136
	global_store_b32 v[2:3], v0, off
	v_add_co_u32 v2, vcc_lo, v2, s13
	v_add_co_ci_u32_e32 v3, vcc_lo, s12, v3, vcc_lo
	s_waitcnt lgkmcnt(0)
	v_lshrrev_b32_e32 v0, 16, v5
	s_waitcnt vmcnt(0)
	v_lshrrev_b32_e32 v32, 16, v10
	v_mov_b32_e32 v37, v10
	s_delay_alu instid0(VALU_DEP_2) | instskip(NEXT) | instid1(VALU_DEP_1)
	v_mul_f16_e32 v9, v32, v5
	v_fma_f16 v9, v10, v0, -v9
	v_mul_f16_e32 v0, v32, v0
	s_delay_alu instid0(VALU_DEP_2) | instskip(NEXT) | instid1(VALU_DEP_2)
	v_cvt_f32_f16_e32 v9, v9
	v_fmac_f16_e32 v0, v37, v5
	scratch_load_b32 v37, off, off offset:160 ; 4-byte Folded Reload
	v_cvt_f64_f32_e32 v[9:10], v9
	v_cvt_f32_f16_e32 v0, v0
	s_delay_alu instid0(VALU_DEP_2) | instskip(NEXT) | instid1(VALU_DEP_1)
	v_mul_f64 v[9:10], v[9:10], s[10:11]
	v_and_or_b32 v9, 0x1ff, v10, v9
	v_lshrrev_b32_e32 v17, 8, v10
	v_bfe_u32 v29, v10, 20, 11
	s_delay_alu instid0(VALU_DEP_3) | instskip(SKIP_1) | instid1(VALU_DEP_1)
	v_cmp_ne_u32_e32 vcc_lo, 0, v9
	v_cndmask_b32_e64 v9, 0, 1, vcc_lo
	v_and_or_b32 v9, 0xffe, v17, v9
	s_delay_alu instid0(VALU_DEP_4) | instskip(NEXT) | instid1(VALU_DEP_2)
	v_sub_nc_u32_e32 v17, 0x3f1, v29
	v_or_b32_e32 v20, 0x1000, v9
	s_delay_alu instid0(VALU_DEP_2) | instskip(NEXT) | instid1(VALU_DEP_1)
	v_med3_i32 v17, v17, 0, 13
	v_lshrrev_b32_e32 v30, v17, v20
	s_delay_alu instid0(VALU_DEP_1) | instskip(NEXT) | instid1(VALU_DEP_1)
	v_lshlrev_b32_e32 v17, v17, v30
	v_cmp_ne_u32_e32 vcc_lo, v17, v20
	v_mul_f16_e32 v17, v31, v19
	s_delay_alu instid0(VALU_DEP_1) | instskip(NEXT) | instid1(VALU_DEP_1)
	v_fmac_f16_e32 v17, v34, v7
	v_cvt_f32_f16_e32 v7, v17
	s_delay_alu instid0(VALU_DEP_1) | instskip(NEXT) | instid1(VALU_DEP_1)
	v_cvt_f64_f32_e32 v[19:20], v7
	v_mul_f64 v[19:20], v[19:20], s[10:11]
	s_delay_alu instid0(VALU_DEP_1) | instskip(SKIP_1) | instid1(VALU_DEP_2)
	v_and_or_b32 v7, 0x1ff, v20, v19
	v_lshrrev_b32_e32 v17, 8, v20
	v_cmp_ne_u32_e64 s2, 0, v7
	s_delay_alu instid0(VALU_DEP_1) | instskip(NEXT) | instid1(VALU_DEP_1)
	v_cndmask_b32_e64 v7, 0, 1, s2
	v_and_or_b32 v7, 0xffe, v17, v7
	v_bfe_u32 v17, v20, 20, 11
	s_delay_alu instid0(VALU_DEP_2) | instskip(NEXT) | instid1(VALU_DEP_2)
	v_or_b32_e32 v21, 0x1000, v7
	v_sub_nc_u32_e32 v19, 0x3f1, v17
	v_add_nc_u32_e32 v17, 0xfffffc10, v17
	s_delay_alu instid0(VALU_DEP_2) | instskip(NEXT) | instid1(VALU_DEP_1)
	v_med3_i32 v19, v19, 0, 13
	v_lshrrev_b32_e32 v31, v19, v21
	s_delay_alu instid0(VALU_DEP_1) | instskip(NEXT) | instid1(VALU_DEP_1)
	v_lshlrev_b32_e32 v19, v19, v31
	v_cmp_ne_u32_e64 s2, v19, v21
	v_lshl_or_b32 v21, v17, 12, v7
	s_delay_alu instid0(VALU_DEP_2) | instskip(SKIP_1) | instid1(VALU_DEP_2)
	v_cndmask_b32_e64 v19, 0, 1, s2
	v_cmp_gt_i32_e64 s2, 1, v17
	v_or_b32_e32 v19, v31, v19
	s_delay_alu instid0(VALU_DEP_1) | instskip(NEXT) | instid1(VALU_DEP_1)
	v_cndmask_b32_e64 v19, v21, v19, s2
	v_and_b32_e32 v21, 7, v19
	v_lshrrev_b32_e32 v19, 2, v19
	s_delay_alu instid0(VALU_DEP_2) | instskip(SKIP_4) | instid1(VALU_DEP_4)
	v_cmp_lt_i32_e64 s2, 5, v21
	v_cmp_eq_u32_e64 s3, 3, v21
	v_cndmask_b32_e64 v21, 0, 1, s1
	v_cmp_ne_u32_e64 s1, 0, v7
	v_add_nc_u32_e32 v7, 0xfffffc10, v23
	s_or_b32 s2, s3, s2
	s_delay_alu instid0(VALU_DEP_3) | instskip(SKIP_1) | instid1(VALU_DEP_3)
	v_or_b32_e32 v21, v24, v21
	v_add_co_ci_u32_e64 v19, s2, 0, v19, s2
	v_lshl_or_b32 v23, v7, 12, v22
	v_cmp_gt_i32_e64 s4, 1, v7
	v_cmp_gt_i32_e64 s2, 31, v17
	v_cmp_ne_u32_e64 s3, 0, v22
	scratch_load_b32 v24, off, off offset:168 ; 4-byte Folded Reload
	v_cndmask_b32_e64 v21, v23, v21, s4
	v_cndmask_b32_e64 v23, 0, 1, s1
	v_cndmask_b32_e64 v19, 0x7c00, v19, s2
	v_cmp_eq_u32_e64 s1, 0x40f, v17
	s_delay_alu instid0(VALU_DEP_3) | instskip(NEXT) | instid1(VALU_DEP_1)
	v_lshl_or_b32 v23, v23, 9, 0x7c00
	v_cndmask_b32_e64 v17, v19, v23, s1
	v_lshrrev_b32_e32 v19, 16, v20
	v_and_b32_e32 v20, 7, v21
	s_delay_alu instid0(VALU_DEP_2) | instskip(NEXT) | instid1(VALU_DEP_2)
	v_and_or_b32 v17, 0x8000, v19, v17
	v_cmp_lt_i32_e64 s1, 5, v20
	v_cmp_eq_u32_e64 s2, 3, v20
	v_lshrrev_b32_e32 v20, 2, v21
	v_cndmask_b32_e64 v21, 0, 1, s3
	s_delay_alu instid0(VALU_DEP_3)
	s_or_b32 s1, s2, s1
	s_delay_alu instid0(VALU_DEP_2) | instid1(SALU_CYCLE_1)
	v_add_co_ci_u32_e64 v20, s1, 0, v20, s1
	v_cmp_gt_i32_e64 s1, 31, v7
	s_delay_alu instid0(VALU_DEP_3) | instskip(NEXT) | instid1(VALU_DEP_2)
	v_lshl_or_b32 v21, v21, 9, 0x7c00
	v_cndmask_b32_e64 v20, 0x7c00, v20, s1
	v_cmp_eq_u32_e64 s1, 0x40f, v7
	s_delay_alu instid0(VALU_DEP_1) | instskip(NEXT) | instid1(VALU_DEP_1)
	v_cndmask_b32_e64 v7, v20, v21, s1
	v_and_or_b32 v7, 0x8000, v16, v7
	v_and_b32_e32 v16, 0xffff, v17
	s_delay_alu instid0(VALU_DEP_1) | instskip(SKIP_3) | instid1(VALU_DEP_1)
	v_lshl_or_b32 v7, v7, 16, v16
	global_store_b32 v[2:3], v7, off
	v_mul_f16_e32 v7, v33, v25
	v_add_co_u32 v2, s1, v2, s13
	v_add_co_ci_u32_e64 v3, s1, s12, v3, s1
	s_delay_alu instid0(VALU_DEP_3) | instskip(NEXT) | instid1(VALU_DEP_1)
	v_fmac_f16_e64 v7, v198, v14
	v_cvt_f32_f16_e32 v7, v7
	s_delay_alu instid0(VALU_DEP_1) | instskip(NEXT) | instid1(VALU_DEP_1)
	v_cvt_f64_f32_e32 v[16:17], v7
	v_mul_f64 v[16:17], v[16:17], s[10:11]
	s_delay_alu instid0(VALU_DEP_1) | instskip(SKIP_1) | instid1(VALU_DEP_2)
	v_and_or_b32 v7, 0x1ff, v17, v16
	v_lshrrev_b32_e32 v14, 8, v17
	v_cmp_ne_u32_e64 s1, 0, v7
	s_delay_alu instid0(VALU_DEP_1) | instskip(NEXT) | instid1(VALU_DEP_1)
	v_cndmask_b32_e64 v7, 0, 1, s1
	v_and_or_b32 v7, 0xffe, v14, v7
	v_bfe_u32 v14, v17, 20, 11
	s_delay_alu instid0(VALU_DEP_2) | instskip(NEXT) | instid1(VALU_DEP_2)
	v_or_b32_e32 v19, 0x1000, v7
	v_sub_nc_u32_e32 v16, 0x3f1, v14
	v_add_nc_u32_e32 v14, 0xfffffc10, v14
	s_delay_alu instid0(VALU_DEP_2) | instskip(NEXT) | instid1(VALU_DEP_1)
	v_med3_i32 v16, v16, 0, 13
	v_lshrrev_b32_e32 v20, v16, v19
	s_delay_alu instid0(VALU_DEP_1) | instskip(NEXT) | instid1(VALU_DEP_1)
	v_lshlrev_b32_e32 v16, v16, v20
	v_cmp_ne_u32_e64 s1, v16, v19
	v_lshl_or_b32 v19, v14, 12, v7
	s_delay_alu instid0(VALU_DEP_2) | instskip(SKIP_1) | instid1(VALU_DEP_2)
	v_cndmask_b32_e64 v16, 0, 1, s1
	v_cmp_gt_i32_e64 s1, 1, v14
	v_or_b32_e32 v16, v20, v16
	s_delay_alu instid0(VALU_DEP_1) | instskip(NEXT) | instid1(VALU_DEP_1)
	v_cndmask_b32_e64 v16, v19, v16, s1
	v_and_b32_e32 v19, 7, v16
	v_lshrrev_b32_e32 v16, 2, v16
	s_delay_alu instid0(VALU_DEP_2) | instskip(SKIP_4) | instid1(VALU_DEP_4)
	v_cmp_lt_i32_e64 s1, 5, v19
	v_cmp_eq_u32_e64 s2, 3, v19
	v_cndmask_b32_e64 v19, 0, 1, s0
	v_cmp_ne_u32_e64 s0, 0, v7
	v_add_nc_u32_e32 v7, 0xfffffc10, v27
	s_or_b32 s1, s2, s1
	s_delay_alu instid0(VALU_DEP_3) | instskip(SKIP_1) | instid1(VALU_DEP_3)
	v_or_b32_e32 v19, v28, v19
	v_add_co_ci_u32_e64 v16, s1, 0, v16, s1
	v_lshl_or_b32 v20, v7, 12, v26
	v_cmp_gt_i32_e64 s3, 1, v7
	v_cmp_gt_i32_e64 s1, 31, v14
	v_cmp_ne_u32_e64 s2, 0, v26
	s_delay_alu instid0(VALU_DEP_3) | instskip(SKIP_1) | instid1(VALU_DEP_4)
	v_cndmask_b32_e64 v19, v20, v19, s3
	v_cndmask_b32_e64 v20, 0, 1, s0
	;; [unrolled: 1-line block ×3, first 2 shown]
	v_cmp_eq_u32_e64 s0, 0x40f, v14
	s_delay_alu instid0(VALU_DEP_3) | instskip(NEXT) | instid1(VALU_DEP_1)
	v_lshl_or_b32 v20, v20, 9, 0x7c00
	v_cndmask_b32_e64 v14, v16, v20, s0
	v_and_b32_e32 v16, 7, v19
	s_delay_alu instid0(VALU_DEP_1) | instskip(SKIP_4) | instid1(VALU_DEP_4)
	v_cmp_lt_i32_e64 s0, 5, v16
	v_cmp_eq_u32_e64 s1, 3, v16
	v_lshrrev_b32_e32 v16, 16, v17
	v_lshrrev_b32_e32 v17, 2, v19
	v_cndmask_b32_e64 v19, 0, 1, s2
	s_or_b32 s0, s1, s0
	s_delay_alu instid0(VALU_DEP_3) | instskip(NEXT) | instid1(VALU_DEP_3)
	v_and_or_b32 v14, 0x8000, v16, v14
	v_add_co_ci_u32_e64 v17, s0, 0, v17, s0
	v_cmp_gt_i32_e64 s0, 31, v7
	v_lshl_or_b32 v19, v19, 9, 0x7c00
	s_delay_alu instid0(VALU_DEP_4) | instskip(NEXT) | instid1(VALU_DEP_3)
	v_and_b32_e32 v14, 0xffff, v14
	v_cndmask_b32_e64 v17, 0x7c00, v17, s0
	v_cmp_eq_u32_e64 s0, 0x40f, v7
	s_delay_alu instid0(VALU_DEP_1) | instskip(SKIP_2) | instid1(VALU_DEP_1)
	v_cndmask_b32_e64 v7, v17, v19, s0
	v_lshrrev_b32_e32 v17, 16, v18
	v_add_co_u32 v19, s0, v2, s13
	v_add_co_ci_u32_e64 v20, s0, s12, v3, s0
	s_delay_alu instid0(VALU_DEP_3)
	v_and_or_b32 v7, 0x8000, v17, v7
	ds_load_2addr_b32 v[17:18], v148 offset0:112 offset1:232
	v_lshl_or_b32 v7, v7, 16, v14
	global_store_b32 v[2:3], v7, off
	scratch_load_b32 v3, off, off offset:172 ; 4-byte Folded Reload
	s_waitcnt lgkmcnt(0)
	v_lshrrev_b32_e32 v7, 16, v17
	s_waitcnt vmcnt(1)
	v_lshrrev_b32_e32 v36, 16, v24
	v_mov_b32_e32 v39, v24
	s_waitcnt vmcnt(0)
	v_lshrrev_b32_e32 v34, 16, v3
	v_mov_b32_e32 v35, v3
	s_delay_alu instid0(VALU_DEP_2) | instskip(NEXT) | instid1(VALU_DEP_1)
	v_mul_f16_e32 v2, v34, v17
	v_fma_f16 v2, v3, v7, -v2
	s_delay_alu instid0(VALU_DEP_1) | instskip(NEXT) | instid1(VALU_DEP_1)
	v_cvt_f32_f16_e32 v2, v2
	v_cvt_f64_f32_e32 v[2:3], v2
	s_delay_alu instid0(VALU_DEP_1) | instskip(NEXT) | instid1(VALU_DEP_1)
	v_mul_f64 v[21:22], v[2:3], s[10:11]
	v_and_or_b32 v2, 0x1ff, v22, v21
	v_lshrrev_b32_e32 v3, 8, v22
	v_bfe_u32 v16, v22, 20, 11
	s_delay_alu instid0(VALU_DEP_3) | instskip(NEXT) | instid1(VALU_DEP_1)
	v_cmp_ne_u32_e64 s0, 0, v2
	v_cndmask_b32_e64 v2, 0, 1, s0
	s_delay_alu instid0(VALU_DEP_1) | instskip(NEXT) | instid1(VALU_DEP_4)
	v_and_or_b32 v14, 0xffe, v3, v2
	v_sub_nc_u32_e32 v2, 0x3f1, v16
	s_delay_alu instid0(VALU_DEP_2) | instskip(NEXT) | instid1(VALU_DEP_2)
	v_or_b32_e32 v3, 0x1000, v14
	v_med3_i32 v2, v2, 0, 13
	s_delay_alu instid0(VALU_DEP_1) | instskip(NEXT) | instid1(VALU_DEP_1)
	v_lshrrev_b32_e32 v21, v2, v3
	v_lshlrev_b32_e32 v2, v2, v21
	s_delay_alu instid0(VALU_DEP_1) | instskip(SKIP_4) | instid1(VALU_DEP_1)
	v_cmp_ne_u32_e64 s1, v2, v3
	ds_load_2addr_b32 v[2:3], v145 offset0:96 offset1:216
	s_waitcnt lgkmcnt(0)
	v_lshrrev_b32_e32 v27, 16, v3
	v_mul_f16_e32 v23, v36, v3
	v_fma_f16 v23, v24, v27, -v23
	s_delay_alu instid0(VALU_DEP_1) | instskip(NEXT) | instid1(VALU_DEP_1)
	v_cvt_f32_f16_e32 v23, v23
	v_cvt_f64_f32_e32 v[23:24], v23
	s_delay_alu instid0(VALU_DEP_1) | instskip(NEXT) | instid1(VALU_DEP_1)
	v_mul_f64 v[23:24], v[23:24], s[10:11]
	v_and_or_b32 v23, 0x1ff, v24, v23
	v_lshrrev_b32_e32 v25, 8, v24
	v_bfe_u32 v28, v24, 20, 11
	s_delay_alu instid0(VALU_DEP_3) | instskip(NEXT) | instid1(VALU_DEP_1)
	v_cmp_ne_u32_e64 s0, 0, v23
	v_cndmask_b32_e64 v23, 0, 1, s0
	s_delay_alu instid0(VALU_DEP_1) | instskip(NEXT) | instid1(VALU_DEP_4)
	v_and_or_b32 v23, 0xffe, v25, v23
	v_sub_nc_u32_e32 v25, 0x3f1, v28
	s_delay_alu instid0(VALU_DEP_2) | instskip(NEXT) | instid1(VALU_DEP_2)
	v_or_b32_e32 v26, 0x1000, v23
	v_med3_i32 v25, v25, 0, 13
	s_delay_alu instid0(VALU_DEP_1) | instskip(NEXT) | instid1(VALU_DEP_1)
	v_lshrrev_b32_e32 v31, v25, v26
	v_lshlrev_b32_e32 v25, v25, v31
	s_delay_alu instid0(VALU_DEP_1) | instskip(SKIP_1) | instid1(VALU_DEP_1)
	v_cmp_ne_u32_e64 s0, v25, v26
	v_cvt_f64_f32_e32 v[25:26], v0
	v_mul_f64 v[25:26], v[25:26], s[10:11]
	s_delay_alu instid0(VALU_DEP_1) | instskip(SKIP_1) | instid1(VALU_DEP_2)
	v_and_or_b32 v0, 0x1ff, v26, v25
	v_lshrrev_b32_e32 v5, 8, v26
	v_cmp_ne_u32_e64 s2, 0, v0
	s_delay_alu instid0(VALU_DEP_1) | instskip(NEXT) | instid1(VALU_DEP_1)
	v_cndmask_b32_e64 v0, 0, 1, s2
	v_and_or_b32 v0, 0xffe, v5, v0
	v_bfe_u32 v5, v26, 20, 11
	s_delay_alu instid0(VALU_DEP_2) | instskip(NEXT) | instid1(VALU_DEP_2)
	v_or_b32_e32 v32, 0x1000, v0
	v_sub_nc_u32_e32 v25, 0x3f1, v5
	v_add_nc_u32_e32 v5, 0xfffffc10, v5
	s_delay_alu instid0(VALU_DEP_2) | instskip(NEXT) | instid1(VALU_DEP_1)
	v_med3_i32 v25, v25, 0, 13
	v_lshrrev_b32_e32 v33, v25, v32
	s_delay_alu instid0(VALU_DEP_1) | instskip(NEXT) | instid1(VALU_DEP_1)
	v_lshlrev_b32_e32 v25, v25, v33
	v_cmp_ne_u32_e64 s2, v25, v32
	v_lshl_or_b32 v32, v5, 12, v0
	s_delay_alu instid0(VALU_DEP_2) | instskip(SKIP_1) | instid1(VALU_DEP_2)
	v_cndmask_b32_e64 v25, 0, 1, s2
	v_cmp_gt_i32_e64 s2, 1, v5
	v_or_b32_e32 v25, v33, v25
	v_lshrrev_b32_e32 v33, 16, v205
	s_delay_alu instid0(VALU_DEP_2) | instskip(NEXT) | instid1(VALU_DEP_1)
	v_cndmask_b32_e64 v25, v32, v25, s2
	v_and_b32_e32 v32, 7, v25
	v_lshrrev_b32_e32 v25, 2, v25
	s_delay_alu instid0(VALU_DEP_2) | instskip(SKIP_4) | instid1(VALU_DEP_4)
	v_cmp_lt_i32_e64 s2, 5, v32
	v_cmp_eq_u32_e64 s3, 3, v32
	v_cndmask_b32_e64 v32, 0, 1, vcc_lo
	v_cmp_ne_u32_e32 vcc_lo, 0, v0
	v_add_nc_u32_e32 v0, 0xfffffc10, v29
	s_or_b32 s2, s3, s2
	s_delay_alu instid0(VALU_DEP_3) | instskip(SKIP_1) | instid1(VALU_DEP_3)
	v_or_b32_e32 v30, v30, v32
	v_add_co_ci_u32_e64 v25, s2, 0, v25, s2
	v_lshl_or_b32 v29, v0, 12, v9
	v_cmp_gt_i32_e64 s4, 1, v0
	v_cmp_gt_i32_e64 s2, 31, v5
	v_cmp_ne_u32_e64 s3, 0, v9
	s_delay_alu instid0(VALU_DEP_3) | instskip(SKIP_1) | instid1(VALU_DEP_4)
	v_cndmask_b32_e64 v29, v29, v30, s4
	v_cndmask_b32_e64 v30, 0, 1, vcc_lo
	v_cndmask_b32_e64 v25, 0x7c00, v25, s2
	v_cmp_eq_u32_e32 vcc_lo, 0x40f, v5
	s_delay_alu instid0(VALU_DEP_4) | instskip(NEXT) | instid1(VALU_DEP_4)
	v_lshrrev_b32_e32 v9, 2, v29
	v_lshl_or_b32 v30, v30, 9, 0x7c00
	s_delay_alu instid0(VALU_DEP_1) | instskip(SKIP_2) | instid1(VALU_DEP_2)
	v_cndmask_b32_e32 v5, v25, v30, vcc_lo
	v_lshrrev_b32_e32 v25, 16, v26
	v_and_b32_e32 v26, 7, v29
	v_and_or_b32 v5, 0x8000, v25, v5
	s_delay_alu instid0(VALU_DEP_2) | instskip(SKIP_2) | instid1(VALU_DEP_4)
	v_cmp_lt_i32_e32 vcc_lo, 5, v26
	v_cmp_eq_u32_e64 s2, 3, v26
	v_cndmask_b32_e64 v26, 0, 1, s3
	v_and_b32_e32 v5, 0xffff, v5
	s_delay_alu instid0(VALU_DEP_3) | instskip(NEXT) | instid1(VALU_DEP_2)
	s_or_b32 vcc_lo, s2, vcc_lo
	v_lshl_or_b32 v26, v26, 9, 0x7c00
	v_add_co_ci_u32_e32 v9, vcc_lo, 0, v9, vcc_lo
	v_cmp_gt_i32_e32 vcc_lo, 31, v0
	s_delay_alu instid0(VALU_DEP_2) | instskip(SKIP_1) | instid1(VALU_DEP_2)
	v_cndmask_b32_e32 v9, 0x7c00, v9, vcc_lo
	v_cmp_eq_u32_e32 vcc_lo, 0x40f, v0
	v_cndmask_b32_e32 v0, v9, v26, vcc_lo
	v_lshrrev_b32_e32 v9, 16, v10
	s_delay_alu instid0(VALU_DEP_1) | instskip(SKIP_2) | instid1(VALU_DEP_3)
	v_and_or_b32 v0, 0x8000, v9, v0
	v_add_co_u32 v9, vcc_lo, v19, s13
	v_add_co_ci_u32_e32 v10, vcc_lo, s12, v20, vcc_lo
	v_lshl_or_b32 v0, v0, 16, v5
	global_store_b32 v[19:20], v0, off
	ds_load_2addr_b32 v[19:20], v192 offset0:64 offset1:184
	s_waitcnt lgkmcnt(0)
	v_lshrrev_b32_e32 v5, 16, v19
	v_mul_f16_e32 v0, v38, v19
	s_delay_alu instid0(VALU_DEP_1) | instskip(SKIP_1) | instid1(VALU_DEP_2)
	v_fma_f16 v0, v37, v5, -v0
	v_mul_f16_e32 v5, v38, v5
	v_cvt_f32_f16_e32 v0, v0
	s_delay_alu instid0(VALU_DEP_2) | instskip(NEXT) | instid1(VALU_DEP_2)
	v_fmac_f16_e32 v5, v37, v19
	v_cvt_f64_f32_e32 v[25:26], v0
	s_delay_alu instid0(VALU_DEP_2) | instskip(NEXT) | instid1(VALU_DEP_2)
	v_cvt_f32_f16_e32 v5, v5
	v_mul_f64 v[25:26], v[25:26], s[10:11]
	s_delay_alu instid0(VALU_DEP_1) | instskip(SKIP_2) | instid1(VALU_DEP_3)
	v_and_or_b32 v0, 0x1ff, v26, v25
	v_lshrrev_b32_e32 v25, 8, v26
	v_bfe_u32 v29, v26, 20, 11
	v_cmp_ne_u32_e32 vcc_lo, 0, v0
	v_cndmask_b32_e64 v0, 0, 1, vcc_lo
	s_delay_alu instid0(VALU_DEP_1) | instskip(NEXT) | instid1(VALU_DEP_4)
	v_and_or_b32 v25, 0xffe, v25, v0
	v_sub_nc_u32_e32 v0, 0x3f1, v29
	s_delay_alu instid0(VALU_DEP_2) | instskip(NEXT) | instid1(VALU_DEP_2)
	v_or_b32_e32 v30, 0x1000, v25
	v_med3_i32 v0, v0, 0, 13
	s_delay_alu instid0(VALU_DEP_1) | instskip(NEXT) | instid1(VALU_DEP_1)
	v_lshrrev_b32_e32 v32, v0, v30
	v_lshlrev_b32_e32 v0, v0, v32
	s_delay_alu instid0(VALU_DEP_1) | instskip(SKIP_1) | instid1(VALU_DEP_1)
	v_cmp_ne_u32_e32 vcc_lo, v0, v30
	v_lshrrev_b32_e32 v0, 16, v1
	v_mul_f16_e32 v30, v33, v0
	v_mul_f16_e32 v33, v33, v1
	s_delay_alu instid0(VALU_DEP_2) | instskip(NEXT) | instid1(VALU_DEP_2)
	v_fmac_f16_e64 v30, v205, v1
	v_fma_f16 v33, v205, v0, -v33
	v_mul_f16_e32 v0, v34, v7
	s_delay_alu instid0(VALU_DEP_1) | instskip(NEXT) | instid1(VALU_DEP_1)
	v_fmac_f16_e32 v0, v35, v17
	v_cvt_f32_f16_e32 v0, v0
	s_delay_alu instid0(VALU_DEP_1) | instskip(NEXT) | instid1(VALU_DEP_1)
	v_cvt_f64_f32_e32 v[0:1], v0
	v_mul_f64 v[0:1], v[0:1], s[10:11]
	s_delay_alu instid0(VALU_DEP_1) | instskip(SKIP_1) | instid1(VALU_DEP_2)
	v_and_or_b32 v0, 0x1ff, v1, v0
	v_lshrrev_b32_e32 v7, 8, v1
	v_cmp_ne_u32_e64 s2, 0, v0
	s_delay_alu instid0(VALU_DEP_1) | instskip(NEXT) | instid1(VALU_DEP_1)
	v_cndmask_b32_e64 v0, 0, 1, s2
	v_and_or_b32 v0, 0xffe, v7, v0
	v_bfe_u32 v7, v1, 20, 11
	v_lshrrev_b32_e32 v1, 16, v1
	s_delay_alu instid0(VALU_DEP_3) | instskip(NEXT) | instid1(VALU_DEP_3)
	v_or_b32_e32 v34, 0x1000, v0
	v_sub_nc_u32_e32 v17, 0x3f1, v7
	v_add_nc_u32_e32 v7, 0xfffffc10, v7
	s_delay_alu instid0(VALU_DEP_2) | instskip(NEXT) | instid1(VALU_DEP_1)
	v_med3_i32 v17, v17, 0, 13
	v_lshrrev_b32_e32 v35, v17, v34
	s_delay_alu instid0(VALU_DEP_1) | instskip(NEXT) | instid1(VALU_DEP_1)
	v_lshlrev_b32_e32 v17, v17, v35
	v_cmp_ne_u32_e64 s2, v17, v34
	v_lshl_or_b32 v34, v7, 12, v0
	s_delay_alu instid0(VALU_DEP_2) | instskip(SKIP_1) | instid1(VALU_DEP_2)
	v_cndmask_b32_e64 v17, 0, 1, s2
	v_cmp_gt_i32_e64 s2, 1, v7
	v_or_b32_e32 v17, v35, v17
	s_delay_alu instid0(VALU_DEP_1) | instskip(NEXT) | instid1(VALU_DEP_1)
	v_cndmask_b32_e64 v17, v34, v17, s2
	v_and_b32_e32 v34, 7, v17
	v_lshrrev_b32_e32 v17, 2, v17
	s_delay_alu instid0(VALU_DEP_2) | instskip(SKIP_4) | instid1(VALU_DEP_4)
	v_cmp_lt_i32_e64 s2, 5, v34
	v_cmp_eq_u32_e64 s3, 3, v34
	v_cndmask_b32_e64 v34, 0, 1, s1
	v_cmp_ne_u32_e64 s1, 0, v0
	v_add_nc_u32_e32 v0, 0xfffffc10, v16
	s_or_b32 s2, s3, s2
	s_delay_alu instid0(VALU_DEP_3) | instskip(SKIP_1) | instid1(VALU_DEP_3)
	v_or_b32_e32 v21, v21, v34
	v_add_co_ci_u32_e64 v17, s2, 0, v17, s2
	v_lshl_or_b32 v16, v0, 12, v14
	v_cmp_gt_i32_e64 s4, 1, v0
	v_cmp_gt_i32_e64 s2, 31, v7
	v_cmp_ne_u32_e64 s3, 0, v14
	s_delay_alu instid0(VALU_DEP_3) | instskip(SKIP_1) | instid1(VALU_DEP_4)
	v_cndmask_b32_e64 v16, v16, v21, s4
	v_cndmask_b32_e64 v21, 0, 1, s1
	;; [unrolled: 1-line block ×3, first 2 shown]
	v_cmp_eq_u32_e64 s1, 0x40f, v7
	s_delay_alu instid0(VALU_DEP_4) | instskip(NEXT) | instid1(VALU_DEP_4)
	v_lshrrev_b32_e32 v14, 2, v16
	v_lshl_or_b32 v21, v21, 9, 0x7c00
	s_delay_alu instid0(VALU_DEP_1) | instskip(SKIP_2) | instid1(VALU_DEP_3)
	v_cndmask_b32_e64 v7, v17, v21, s1
	v_and_b32_e32 v17, 7, v16
	v_cndmask_b32_e64 v16, 0, 1, s3
	v_and_or_b32 v1, 0x8000, v1, v7
	s_delay_alu instid0(VALU_DEP_3) | instskip(SKIP_1) | instid1(VALU_DEP_4)
	v_cmp_lt_i32_e64 s1, 5, v17
	v_cmp_eq_u32_e64 s2, 3, v17
	v_lshl_or_b32 v16, v16, 9, 0x7c00
	v_mul_f16_e32 v7, v36, v27
	v_and_b32_e32 v1, 0xffff, v1
	s_delay_alu instid0(VALU_DEP_4) | instskip(NEXT) | instid1(SALU_CYCLE_1)
	s_or_b32 s1, s2, s1
	v_add_co_ci_u32_e64 v14, s1, 0, v14, s1
	v_cmp_gt_i32_e64 s1, 31, v0
	v_fmac_f16_e32 v7, v39, v3
	s_delay_alu instid0(VALU_DEP_2) | instskip(SKIP_1) | instid1(VALU_DEP_3)
	v_cndmask_b32_e64 v14, 0x7c00, v14, s1
	v_cmp_eq_u32_e64 s1, 0x40f, v0
	v_cvt_f32_f16_e32 v3, v7
	s_delay_alu instid0(VALU_DEP_2) | instskip(SKIP_1) | instid1(VALU_DEP_1)
	v_cndmask_b32_e64 v0, v14, v16, s1
	v_lshrrev_b32_e32 v14, 16, v22
	v_and_or_b32 v0, 0x8000, v14, v0
	s_delay_alu instid0(VALU_DEP_1) | instskip(SKIP_2) | instid1(VALU_DEP_1)
	v_lshl_or_b32 v0, v0, 16, v1
	global_store_b32 v[9:10], v0, off
	v_add_co_u32 v0, s1, v9, s13
	v_add_co_ci_u32_e64 v1, s1, s12, v10, s1
	v_cvt_f64_f32_e32 v[9:10], v3
	s_delay_alu instid0(VALU_DEP_1) | instskip(NEXT) | instid1(VALU_DEP_1)
	v_mul_f64 v[9:10], v[9:10], s[10:11]
	v_and_or_b32 v3, 0x1ff, v10, v9
	v_lshrrev_b32_e32 v7, 8, v10
	s_delay_alu instid0(VALU_DEP_2) | instskip(NEXT) | instid1(VALU_DEP_1)
	v_cmp_ne_u32_e64 s1, 0, v3
	v_cndmask_b32_e64 v3, 0, 1, s1
	s_delay_alu instid0(VALU_DEP_1) | instskip(SKIP_1) | instid1(VALU_DEP_2)
	v_and_or_b32 v3, 0xffe, v7, v3
	v_bfe_u32 v7, v10, 20, 11
	v_or_b32_e32 v14, 0x1000, v3
	s_delay_alu instid0(VALU_DEP_2) | instskip(SKIP_2) | instid1(VALU_DEP_3)
	v_sub_nc_u32_e32 v9, 0x3f1, v7
	v_add_nc_u32_e32 v7, 0xfffffc10, v7
	v_cmp_ne_u32_e64 s3, 0, v3
	v_med3_i32 v9, v9, 0, 13
	s_delay_alu instid0(VALU_DEP_1) | instskip(NEXT) | instid1(VALU_DEP_1)
	v_lshrrev_b32_e32 v16, v9, v14
	v_lshlrev_b32_e32 v9, v9, v16
	s_delay_alu instid0(VALU_DEP_1) | instskip(SKIP_2) | instid1(VALU_DEP_3)
	v_cmp_ne_u32_e64 s1, v9, v14
	v_lshl_or_b32 v14, v7, 12, v3
	v_cndmask_b32_e64 v3, 0, 1, s0
	v_cndmask_b32_e64 v9, 0, 1, s1
	v_cmp_gt_i32_e64 s1, 1, v7
	s_delay_alu instid0(VALU_DEP_3) | instskip(NEXT) | instid1(VALU_DEP_3)
	v_or_b32_e32 v3, v31, v3
	v_or_b32_e32 v9, v16, v9
	s_delay_alu instid0(VALU_DEP_1) | instskip(NEXT) | instid1(VALU_DEP_1)
	v_cndmask_b32_e64 v9, v14, v9, s1
	v_and_b32_e32 v14, 7, v9
	v_lshrrev_b32_e32 v9, 2, v9
	s_delay_alu instid0(VALU_DEP_2) | instskip(SKIP_2) | instid1(VALU_DEP_1)
	v_cmp_lt_i32_e64 s1, 5, v14
	v_cmp_eq_u32_e64 s2, 3, v14
	v_add_nc_u32_e32 v14, 0xfffffc10, v28
	v_lshl_or_b32 v16, v14, 12, v23
	v_cmp_gt_i32_e64 s0, 1, v14
	s_delay_alu instid0(VALU_DEP_1)
	v_cndmask_b32_e64 v3, v16, v3, s0
	s_or_b32 s0, s2, s1
	v_cndmask_b32_e64 v16, 0, 1, s3
	v_add_co_ci_u32_e64 v9, s0, 0, v9, s0
	v_cmp_gt_i32_e64 s0, 31, v7
	v_cmp_ne_u32_e64 s2, 0, v23
	s_delay_alu instid0(VALU_DEP_4) | instskip(NEXT) | instid1(VALU_DEP_3)
	v_lshl_or_b32 v16, v16, 9, 0x7c00
	v_cndmask_b32_e64 v9, 0x7c00, v9, s0
	v_cmp_eq_u32_e64 s0, 0x40f, v7
	s_delay_alu instid0(VALU_DEP_1) | instskip(SKIP_3) | instid1(VALU_DEP_3)
	v_cndmask_b32_e64 v7, v9, v16, s0
	v_lshrrev_b32_e32 v9, 16, v10
	v_and_b32_e32 v10, 7, v3
	v_lshrrev_b32_e32 v3, 2, v3
	v_and_or_b32 v7, 0x8000, v9, v7
	s_delay_alu instid0(VALU_DEP_3) | instskip(SKIP_2) | instid1(VALU_DEP_4)
	v_cmp_lt_i32_e64 s0, 5, v10
	v_cmp_eq_u32_e64 s1, 3, v10
	v_cndmask_b32_e64 v10, 0, 1, s2
	v_and_b32_e32 v7, 0xffff, v7
	s_delay_alu instid0(VALU_DEP_3) | instskip(NEXT) | instid1(VALU_DEP_2)
	s_or_b32 s0, s1, s0
	v_lshl_or_b32 v10, v10, 9, 0x7c00
	v_add_co_ci_u32_e64 v3, s0, 0, v3, s0
	v_cmp_gt_i32_e64 s0, 31, v14
	s_delay_alu instid0(VALU_DEP_1) | instskip(SKIP_1) | instid1(VALU_DEP_1)
	v_cndmask_b32_e64 v3, 0x7c00, v3, s0
	v_cmp_eq_u32_e64 s0, 0x40f, v14
	v_cndmask_b32_e64 v3, v3, v10, s0
	v_lshrrev_b32_e32 v10, 16, v24
	v_add_co_u32 v9, s0, v0, s13
	s_delay_alu instid0(VALU_DEP_2) | instskip(SKIP_1) | instid1(VALU_DEP_2)
	v_and_or_b32 v3, 0x8000, v10, v3
	v_add_co_ci_u32_e64 v10, s0, s12, v1, s0
	v_lshl_or_b32 v3, v3, 16, v7
	global_store_b32 v[0:1], v3, off
	ds_load_2addr_b32 v[0:1], v134 offset0:48 offset1:168
	s_waitcnt lgkmcnt(0)
	v_lshrrev_b32_e32 v3, 16, v1
	v_mul_f16_e32 v7, v42, v1
	s_delay_alu instid0(VALU_DEP_1) | instskip(SKIP_1) | instid1(VALU_DEP_2)
	v_fma_f16 v7, v41, v3, -v7
	v_mul_f16_e32 v3, v42, v3
	v_cvt_f32_f16_e32 v7, v7
	s_delay_alu instid0(VALU_DEP_2) | instskip(NEXT) | instid1(VALU_DEP_2)
	v_fmac_f16_e32 v3, v41, v1
	v_cvt_f64_f32_e32 v[16:17], v7
	s_delay_alu instid0(VALU_DEP_2) | instskip(NEXT) | instid1(VALU_DEP_2)
	v_cvt_f32_f16_e32 v1, v3
	v_mul_f64 v[21:22], v[16:17], s[10:11]
	s_delay_alu instid0(VALU_DEP_1) | instskip(SKIP_2) | instid1(VALU_DEP_3)
	v_and_or_b32 v7, 0x1ff, v22, v21
	v_lshrrev_b32_e32 v14, 8, v22
	v_bfe_u32 v21, v22, 20, 11
	v_cmp_ne_u32_e64 s0, 0, v7
	s_delay_alu instid0(VALU_DEP_1) | instskip(NEXT) | instid1(VALU_DEP_1)
	v_cndmask_b32_e64 v7, 0, 1, s0
	v_and_or_b32 v7, 0xffe, v14, v7
	s_delay_alu instid0(VALU_DEP_4) | instskip(NEXT) | instid1(VALU_DEP_2)
	v_sub_nc_u32_e32 v14, 0x3f1, v21
	v_or_b32_e32 v16, 0x1000, v7
	s_delay_alu instid0(VALU_DEP_2) | instskip(NEXT) | instid1(VALU_DEP_1)
	v_med3_i32 v14, v14, 0, 13
	v_lshrrev_b32_e32 v31, v14, v16
	s_delay_alu instid0(VALU_DEP_1) | instskip(NEXT) | instid1(VALU_DEP_1)
	v_lshlrev_b32_e32 v14, v14, v31
	v_cmp_ne_u32_e64 s3, v14, v16
	v_cvt_f32_f16_e32 v14, v30
	s_delay_alu instid0(VALU_DEP_1) | instskip(NEXT) | instid1(VALU_DEP_1)
	v_cvt_f64_f32_e32 v[16:17], v14
	v_mul_f64 v[23:24], v[16:17], s[10:11]
	s_delay_alu instid0(VALU_DEP_1) | instskip(SKIP_2) | instid1(VALU_DEP_3)
	v_and_or_b32 v14, 0x1ff, v24, v23
	v_lshrrev_b32_e32 v16, 8, v24
	v_bfe_u32 v34, v24, 20, 11
	v_cmp_ne_u32_e64 s0, 0, v14
	s_delay_alu instid0(VALU_DEP_1) | instskip(NEXT) | instid1(VALU_DEP_1)
	v_cndmask_b32_e64 v14, 0, 1, s0
	v_and_or_b32 v23, 0xffe, v16, v14
	s_delay_alu instid0(VALU_DEP_4) | instskip(NEXT) | instid1(VALU_DEP_2)
	v_sub_nc_u32_e32 v14, 0x3f1, v34
	v_or_b32_e32 v16, 0x1000, v23
	s_delay_alu instid0(VALU_DEP_2) | instskip(NEXT) | instid1(VALU_DEP_1)
	v_med3_i32 v14, v14, 0, 13
	v_lshrrev_b32_e32 v35, v14, v16
	s_delay_alu instid0(VALU_DEP_1) | instskip(NEXT) | instid1(VALU_DEP_1)
	v_lshlrev_b32_e32 v14, v14, v35
	v_cmp_ne_u32_e64 s0, v14, v16
	v_cvt_f32_f16_e32 v14, v33
	s_delay_alu instid0(VALU_DEP_1) | instskip(NEXT) | instid1(VALU_DEP_1)
	v_cvt_f64_f32_e32 v[16:17], v14
	v_mul_f64 v[27:28], v[16:17], s[10:11]
	s_delay_alu instid0(VALU_DEP_1) | instskip(SKIP_2) | instid1(VALU_DEP_3)
	v_and_or_b32 v14, 0x1ff, v28, v27
	v_lshrrev_b32_e32 v16, 8, v28
	v_bfe_u32 v33, v28, 20, 11
	v_cmp_ne_u32_e64 s1, 0, v14
	s_delay_alu instid0(VALU_DEP_1) | instskip(NEXT) | instid1(VALU_DEP_1)
	v_cndmask_b32_e64 v14, 0, 1, s1
	v_and_or_b32 v27, 0xffe, v16, v14
	s_delay_alu instid0(VALU_DEP_4) | instskip(NEXT) | instid1(VALU_DEP_2)
	v_sub_nc_u32_e32 v14, 0x3f1, v33
	v_or_b32_e32 v16, 0x1000, v27
	s_delay_alu instid0(VALU_DEP_2) | instskip(NEXT) | instid1(VALU_DEP_1)
	v_med3_i32 v14, v14, 0, 13
	v_lshrrev_b32_e32 v36, v14, v16
	s_delay_alu instid0(VALU_DEP_1) | instskip(NEXT) | instid1(VALU_DEP_1)
	v_lshlrev_b32_e32 v14, v14, v36
	v_cmp_ne_u32_e64 s1, v14, v16
	v_cvt_f64_f32_e32 v[16:17], v5
	s_delay_alu instid0(VALU_DEP_1) | instskip(NEXT) | instid1(VALU_DEP_1)
	v_mul_f64 v[16:17], v[16:17], s[10:11]
	v_and_or_b32 v5, 0x1ff, v17, v16
	v_lshrrev_b32_e32 v14, 8, v17
	s_delay_alu instid0(VALU_DEP_2) | instskip(NEXT) | instid1(VALU_DEP_1)
	v_cmp_ne_u32_e64 s2, 0, v5
	v_cndmask_b32_e64 v5, 0, 1, s2
	s_delay_alu instid0(VALU_DEP_1) | instskip(SKIP_1) | instid1(VALU_DEP_2)
	v_and_or_b32 v5, 0xffe, v14, v5
	v_bfe_u32 v14, v17, 20, 11
	v_or_b32_e32 v19, 0x1000, v5
	s_delay_alu instid0(VALU_DEP_2) | instskip(SKIP_2) | instid1(VALU_DEP_3)
	v_sub_nc_u32_e32 v16, 0x3f1, v14
	v_add_nc_u32_e32 v14, 0xfffffc10, v14
	v_cmp_ne_u32_e64 s5, 0, v5
	v_med3_i32 v16, v16, 0, 13
	s_delay_alu instid0(VALU_DEP_1) | instskip(NEXT) | instid1(VALU_DEP_1)
	v_lshrrev_b32_e32 v30, v16, v19
	v_lshlrev_b32_e32 v16, v16, v30
	s_delay_alu instid0(VALU_DEP_1) | instskip(SKIP_2) | instid1(VALU_DEP_3)
	v_cmp_ne_u32_e64 s2, v16, v19
	v_lshl_or_b32 v19, v14, 12, v5
	v_cndmask_b32_e64 v5, 0, 1, vcc_lo
	v_cndmask_b32_e64 v16, 0, 1, s2
	v_cmp_gt_i32_e64 s2, 1, v14
	s_delay_alu instid0(VALU_DEP_3) | instskip(NEXT) | instid1(VALU_DEP_3)
	v_or_b32_e32 v5, v32, v5
	v_or_b32_e32 v16, v30, v16
	s_delay_alu instid0(VALU_DEP_1) | instskip(NEXT) | instid1(VALU_DEP_1)
	v_cndmask_b32_e64 v16, v19, v16, s2
	v_and_b32_e32 v19, 7, v16
	v_lshrrev_b32_e32 v16, 2, v16
	s_delay_alu instid0(VALU_DEP_2) | instskip(SKIP_2) | instid1(VALU_DEP_1)
	v_cmp_lt_i32_e64 s2, 5, v19
	v_cmp_eq_u32_e64 s4, 3, v19
	v_add_nc_u32_e32 v19, 0xfffffc10, v29
	v_lshl_or_b32 v29, v19, 12, v25
	v_cmp_gt_i32_e32 vcc_lo, 1, v19
	s_delay_alu instid0(VALU_DEP_2)
	v_cndmask_b32_e32 v5, v29, v5, vcc_lo
	s_or_b32 vcc_lo, s4, s2
	v_cndmask_b32_e64 v29, 0, 1, s5
	v_add_co_ci_u32_e32 v16, vcc_lo, 0, v16, vcc_lo
	v_cmp_gt_i32_e32 vcc_lo, 31, v14
	v_cmp_ne_u32_e64 s4, 0, v25
	s_delay_alu instid0(VALU_DEP_4) | instskip(NEXT) | instid1(VALU_DEP_4)
	v_lshl_or_b32 v29, v29, 9, 0x7c00
	v_cndmask_b32_e32 v16, 0x7c00, v16, vcc_lo
	v_cmp_eq_u32_e32 vcc_lo, 0x40f, v14
	s_delay_alu instid0(VALU_DEP_2) | instskip(SKIP_3) | instid1(VALU_DEP_3)
	v_cndmask_b32_e32 v14, v16, v29, vcc_lo
	v_lshrrev_b32_e32 v16, 16, v17
	v_and_b32_e32 v17, 7, v5
	v_lshrrev_b32_e32 v5, 2, v5
	v_and_or_b32 v14, 0x8000, v16, v14
	s_delay_alu instid0(VALU_DEP_3)
	v_cmp_lt_i32_e32 vcc_lo, 5, v17
	v_cmp_eq_u32_e64 s2, 3, v17
	v_cndmask_b32_e64 v17, 0, 1, s4
	scratch_load_b32 v16, off, off offset:144 ; 4-byte Folded Reload
	v_and_b32_e32 v14, 0xffff, v14
	s_or_b32 vcc_lo, s2, vcc_lo
	v_lshl_or_b32 v17, v17, 9, 0x7c00
	v_add_co_ci_u32_e32 v5, vcc_lo, 0, v5, vcc_lo
	v_cmp_gt_i32_e32 vcc_lo, 31, v19
	s_delay_alu instid0(VALU_DEP_2) | instskip(SKIP_1) | instid1(VALU_DEP_2)
	v_cndmask_b32_e32 v5, 0x7c00, v5, vcc_lo
	v_cmp_eq_u32_e32 vcc_lo, 0x40f, v19
	v_cndmask_b32_e32 v5, v5, v17, vcc_lo
	v_lshrrev_b32_e32 v17, 16, v26
	s_delay_alu instid0(VALU_DEP_1) | instskip(NEXT) | instid1(VALU_DEP_1)
	v_and_or_b32 v5, 0x8000, v17, v5
	v_lshl_or_b32 v5, v5, 16, v14
	scratch_load_b32 v14, off, off offset:148 ; 4-byte Folded Reload
	global_store_b32 v[9:10], v5, off
	v_lshrrev_b32_e32 v5, 16, v11
	v_add_co_u32 v9, vcc_lo, v9, s13
	v_add_co_ci_u32_e32 v10, vcc_lo, s12, v10, vcc_lo
	s_waitcnt vmcnt(0)
	s_delay_alu instid0(VALU_DEP_3) | instskip(SKIP_1) | instid1(VALU_DEP_2)
	v_mul_f16_e32 v19, v14, v5
	v_mul_f16_e32 v14, v14, v11
	v_fmac_f16_e32 v19, v16, v11
	s_delay_alu instid0(VALU_DEP_2)
	v_fma_f16 v5, v16, v5, -v14
	ds_load_2addr_b32 v[16:17], v115 offset0:96 offset1:216
	v_cvt_f32_f16_e32 v5, v5
	s_waitcnt lgkmcnt(0)
	v_lshrrev_b32_e32 v11, 16, v16
	v_mul_f16_e32 v14, v44, v16
	s_delay_alu instid0(VALU_DEP_1) | instskip(SKIP_1) | instid1(VALU_DEP_2)
	v_fma_f16 v14, v43, v11, -v14
	v_mul_f16_e32 v11, v44, v11
	v_cvt_f32_f16_e32 v14, v14
	s_delay_alu instid0(VALU_DEP_2) | instskip(NEXT) | instid1(VALU_DEP_2)
	v_fmac_f16_e32 v11, v43, v16
	v_cvt_f64_f32_e32 v[25:26], v14
	s_delay_alu instid0(VALU_DEP_2) | instskip(NEXT) | instid1(VALU_DEP_2)
	v_cvt_f32_f16_e32 v11, v11
	v_mul_f64 v[25:26], v[25:26], s[10:11]
	s_delay_alu instid0(VALU_DEP_1) | instskip(SKIP_2) | instid1(VALU_DEP_3)
	v_and_or_b32 v14, 0x1ff, v26, v25
	v_lshrrev_b32_e32 v25, 8, v26
	v_bfe_u32 v32, v26, 20, 11
	v_cmp_ne_u32_e32 vcc_lo, 0, v14
	v_cndmask_b32_e64 v14, 0, 1, vcc_lo
	s_delay_alu instid0(VALU_DEP_1) | instskip(NEXT) | instid1(VALU_DEP_4)
	v_and_or_b32 v25, 0xffe, v25, v14
	v_sub_nc_u32_e32 v14, 0x3f1, v32
	s_delay_alu instid0(VALU_DEP_2) | instskip(NEXT) | instid1(VALU_DEP_2)
	v_or_b32_e32 v29, 0x1000, v25
	v_med3_i32 v14, v14, 0, 13
	s_delay_alu instid0(VALU_DEP_1) | instskip(NEXT) | instid1(VALU_DEP_1)
	v_lshrrev_b32_e32 v37, v14, v29
	v_lshlrev_b32_e32 v14, v14, v37
	s_delay_alu instid0(VALU_DEP_1) | instskip(SKIP_1) | instid1(VALU_DEP_1)
	v_cmp_ne_u32_e64 s2, v14, v29
	v_cvt_f64_f32_e32 v[29:30], v5
	v_mul_f64 v[29:30], v[29:30], s[10:11]
	s_delay_alu instid0(VALU_DEP_1) | instskip(SKIP_2) | instid1(VALU_DEP_3)
	v_and_or_b32 v5, 0x1ff, v30, v29
	v_lshrrev_b32_e32 v14, 8, v30
	v_bfe_u32 v29, v30, 20, 11
	v_cmp_ne_u32_e32 vcc_lo, 0, v5
	v_cndmask_b32_e64 v5, 0, 1, vcc_lo
	s_delay_alu instid0(VALU_DEP_1) | instskip(NEXT) | instid1(VALU_DEP_4)
	v_and_or_b32 v5, 0xffe, v14, v5
	v_sub_nc_u32_e32 v14, 0x3f1, v29
	s_delay_alu instid0(VALU_DEP_2) | instskip(NEXT) | instid1(VALU_DEP_2)
	v_or_b32_e32 v38, 0x1000, v5
	v_med3_i32 v14, v14, 0, 13
	s_delay_alu instid0(VALU_DEP_1) | instskip(NEXT) | instid1(VALU_DEP_1)
	v_lshrrev_b32_e32 v39, v14, v38
	v_lshlrev_b32_e32 v14, v14, v39
	s_delay_alu instid0(VALU_DEP_1) | instskip(SKIP_1) | instid1(VALU_DEP_1)
	v_cmp_ne_u32_e32 vcc_lo, v14, v38
	v_lshrrev_b32_e32 v14, 16, v15
	v_mul_f16_e32 v38, v40, v14
	v_mul_f16_e32 v40, v40, v15
	s_delay_alu instid0(VALU_DEP_2) | instskip(NEXT) | instid1(VALU_DEP_2)
	v_fmac_f16_e32 v38, v45, v15
	v_fma_f16 v40, v45, v14, -v40
	v_cvt_f64_f32_e32 v[14:15], v1
	s_delay_alu instid0(VALU_DEP_1) | instskip(NEXT) | instid1(VALU_DEP_1)
	v_mul_f64 v[14:15], v[14:15], s[10:11]
	v_and_or_b32 v1, 0x1ff, v15, v14
	v_lshrrev_b32_e32 v3, 8, v15
	s_delay_alu instid0(VALU_DEP_2) | instskip(NEXT) | instid1(VALU_DEP_1)
	v_cmp_ne_u32_e64 s4, 0, v1
	v_cndmask_b32_e64 v1, 0, 1, s4
	s_delay_alu instid0(VALU_DEP_1) | instskip(SKIP_1) | instid1(VALU_DEP_2)
	v_and_or_b32 v1, 0xffe, v3, v1
	v_bfe_u32 v3, v15, 20, 11
	v_or_b32_e32 v41, 0x1000, v1
	s_delay_alu instid0(VALU_DEP_2) | instskip(SKIP_1) | instid1(VALU_DEP_2)
	v_sub_nc_u32_e32 v14, 0x3f1, v3
	v_add_nc_u32_e32 v3, 0xfffffc10, v3
	v_med3_i32 v14, v14, 0, 13
	s_delay_alu instid0(VALU_DEP_1) | instskip(NEXT) | instid1(VALU_DEP_1)
	v_lshrrev_b32_e32 v42, v14, v41
	v_lshlrev_b32_e32 v14, v14, v42
	s_delay_alu instid0(VALU_DEP_1) | instskip(SKIP_1) | instid1(VALU_DEP_2)
	v_cmp_ne_u32_e64 s4, v14, v41
	v_lshl_or_b32 v41, v3, 12, v1
	v_cndmask_b32_e64 v14, 0, 1, s4
	v_cmp_gt_i32_e64 s4, 1, v3
	s_delay_alu instid0(VALU_DEP_2) | instskip(NEXT) | instid1(VALU_DEP_1)
	v_or_b32_e32 v14, v42, v14
	v_cndmask_b32_e64 v14, v41, v14, s4
	s_delay_alu instid0(VALU_DEP_1) | instskip(SKIP_1) | instid1(VALU_DEP_2)
	v_and_b32_e32 v41, 7, v14
	v_lshrrev_b32_e32 v14, 2, v14
	v_cmp_lt_i32_e64 s4, 5, v41
	v_cmp_eq_u32_e64 s5, 3, v41
	v_cndmask_b32_e64 v41, 0, 1, s3
	v_cmp_ne_u32_e64 s3, 0, v1
	v_add_nc_u32_e32 v1, 0xfffffc10, v21
	s_delay_alu instid0(VALU_DEP_4) | instskip(NEXT) | instid1(VALU_DEP_3)
	s_or_b32 s4, s5, s4
	v_or_b32_e32 v31, v31, v41
	v_add_co_ci_u32_e64 v14, s4, 0, v14, s4
	s_delay_alu instid0(VALU_DEP_3) | instskip(SKIP_3) | instid1(VALU_DEP_3)
	v_lshl_or_b32 v21, v1, 12, v7
	v_cmp_gt_i32_e64 s6, 1, v1
	v_cmp_gt_i32_e64 s4, 31, v3
	v_cmp_ne_u32_e64 s5, 0, v7
	v_cndmask_b32_e64 v21, v21, v31, s6
	v_cndmask_b32_e64 v31, 0, 1, s3
	s_delay_alu instid0(VALU_DEP_4) | instskip(SKIP_4) | instid1(VALU_DEP_1)
	v_cndmask_b32_e64 v14, 0x7c00, v14, s4
	v_cmp_eq_u32_e64 s3, 0x40f, v3
	v_cmp_ne_u32_e64 s6, 0, v27
	v_lshrrev_b32_e32 v7, 2, v21
	v_lshl_or_b32 v31, v31, 9, 0x7c00
	v_cndmask_b32_e64 v3, v14, v31, s3
	v_lshrrev_b32_e32 v14, 16, v15
	v_and_b32_e32 v15, 7, v21
	v_add_nc_u32_e32 v21, 0xfffffc10, v33
	s_delay_alu instid0(VALU_DEP_3) | instskip(NEXT) | instid1(VALU_DEP_3)
	v_and_or_b32 v3, 0x8000, v14, v3
	v_cmp_lt_i32_e64 s3, 5, v15
	v_cmp_eq_u32_e64 s4, 3, v15
	v_cndmask_b32_e64 v14, 0, 1, s5
	s_delay_alu instid0(VALU_DEP_4) | instskip(NEXT) | instid1(VALU_DEP_3)
	v_and_b32_e32 v3, 0xffff, v3
	s_or_b32 s3, s4, s3
	s_delay_alu instid0(VALU_DEP_2) | instskip(SKIP_2) | instid1(VALU_DEP_1)
	v_lshl_or_b32 v14, v14, 9, 0x7c00
	v_add_co_ci_u32_e64 v7, s3, 0, v7, s3
	v_cmp_gt_i32_e64 s3, 31, v1
	v_cndmask_b32_e64 v7, 0x7c00, v7, s3
	v_cmp_eq_u32_e64 s3, 0x40f, v1
	s_delay_alu instid0(VALU_DEP_1) | instskip(SKIP_4) | instid1(VALU_DEP_4)
	v_cndmask_b32_e64 v1, v7, v14, s3
	v_lshrrev_b32_e32 v7, 16, v22
	v_cndmask_b32_e64 v14, 0, 1, s0
	v_lshl_or_b32 v22, v21, 12, v27
	v_cmp_ne_u32_e64 s3, 0, v23
	v_and_or_b32 v1, 0x8000, v7, v1
	v_add_nc_u32_e32 v7, 0xfffffc10, v34
	v_or_b32_e32 v14, v35, v14
	scratch_load_b32 v35, off, off offset:120 ; 4-byte Folded Reload
	v_lshl_or_b32 v1, v1, 16, v3
	v_lshl_or_b32 v15, v7, 12, v23
	v_cmp_gt_i32_e64 s0, 1, v7
	global_store_b32 v[9:10], v1, off
	v_cndmask_b32_e64 v14, v15, v14, s0
	v_cndmask_b32_e64 v15, 0, 1, s1
	v_cmp_gt_i32_e64 s0, 1, v21
	s_delay_alu instid0(VALU_DEP_2) | instskip(SKIP_4) | instid1(VALU_DEP_2)
	v_or_b32_e32 v15, v36, v15
	scratch_load_b32 v36, off, off offset:124 ; 4-byte Folded Reload
	v_cndmask_b32_e64 v15, v22, v15, s0
	v_and_b32_e32 v22, 7, v14
	v_lshrrev_b32_e32 v14, 2, v14
	v_cmp_lt_i32_e64 s0, 5, v22
	v_cmp_eq_u32_e64 s1, 3, v22
	v_and_b32_e32 v22, 7, v15
	v_lshrrev_b32_e32 v15, 2, v15
	s_delay_alu instid0(VALU_DEP_3) | instskip(NEXT) | instid1(VALU_DEP_2)
	s_or_b32 s0, s1, s0
	v_cmp_lt_i32_e64 s4, 5, v22
	v_add_co_ci_u32_e64 v14, s0, 0, v14, s0
	v_cmp_eq_u32_e64 s5, 3, v22
	v_cmp_gt_i32_e64 s0, 31, v7
	v_cndmask_b32_e64 v22, 0, 1, s3
	s_delay_alu instid0(VALU_DEP_2) | instskip(NEXT) | instid1(VALU_DEP_2)
	v_cndmask_b32_e64 v14, 0x7c00, v14, s0
	v_lshl_or_b32 v22, v22, 9, 0x7c00
	v_cmp_eq_u32_e64 s0, 0x40f, v7
	s_delay_alu instid0(VALU_DEP_1)
	v_cndmask_b32_e64 v7, v14, v22, s0
	s_or_b32 s0, s5, s4
	v_cndmask_b32_e64 v22, 0, 1, s6
	v_add_co_ci_u32_e64 v15, s0, 0, v15, s0
	v_cmp_gt_i32_e64 s0, 31, v21
	v_lshrrev_b32_e32 v14, 16, v24
	s_delay_alu instid0(VALU_DEP_4) | instskip(NEXT) | instid1(VALU_DEP_3)
	v_lshl_or_b32 v22, v22, 9, 0x7c00
	v_cndmask_b32_e64 v15, 0x7c00, v15, s0
	v_cmp_eq_u32_e64 s0, 0x40f, v21
	v_lshrrev_b32_e32 v21, 16, v28
	v_and_or_b32 v3, 0x8000, v14, v7
	s_delay_alu instid0(VALU_DEP_3) | instskip(SKIP_1) | instid1(VALU_DEP_2)
	v_cndmask_b32_e64 v15, v15, v22, s0
	s_mul_i32 s0, s9, 0xffffcf40
	v_and_b32_e32 v1, 0xffff, v3
	s_sub_i32 s14, s0, s8
	s_delay_alu instid0(VALU_DEP_2) | instskip(SKIP_1) | instid1(VALU_DEP_2)
	v_and_or_b32 v7, 0x8000, v21, v15
	v_mad_u64_u32 v[14:15], null, 0xffffcf40, s8, v[9:10]
	v_lshl_or_b32 v1, v7, 16, v1
	s_delay_alu instid0(VALU_DEP_2) | instskip(NEXT) | instid1(VALU_DEP_3)
	v_add_nc_u32_e32 v15, s14, v15
	v_add_co_u32 v9, s0, v14, s13
	global_store_b32 v[14:15], v1, off
	v_add_co_ci_u32_e64 v10, s0, s12, v15, s0
	ds_load_2addr_b32 v[14:15], v110 offset0:48 offset1:168
	s_waitcnt lgkmcnt(0)
	v_lshrrev_b32_e32 v1, 16, v14
	s_waitcnt vmcnt(0)
	v_mul_f16_e32 v3, v36, v14
	s_delay_alu instid0(VALU_DEP_1) | instskip(SKIP_1) | instid1(VALU_DEP_2)
	v_fma_f16 v3, v35, v1, -v3
	v_mul_f16_e32 v1, v36, v1
	v_cvt_f32_f16_e32 v3, v3
	s_delay_alu instid0(VALU_DEP_2) | instskip(NEXT) | instid1(VALU_DEP_2)
	v_fmac_f16_e32 v1, v35, v14
	v_cvt_f64_f32_e32 v[21:22], v3
	s_delay_alu instid0(VALU_DEP_2) | instskip(NEXT) | instid1(VALU_DEP_2)
	v_cvt_f32_f16_e32 v1, v1
	v_mul_f64 v[21:22], v[21:22], s[10:11]
	s_delay_alu instid0(VALU_DEP_1) | instskip(SKIP_1) | instid1(VALU_DEP_2)
	v_and_or_b32 v3, 0x1ff, v22, v21
	v_lshrrev_b32_e32 v7, 8, v22
	v_cmp_ne_u32_e64 s0, 0, v3
	s_delay_alu instid0(VALU_DEP_1) | instskip(NEXT) | instid1(VALU_DEP_1)
	v_cndmask_b32_e64 v3, 0, 1, s0
	v_and_or_b32 v3, 0xffe, v7, v3
	v_bfe_u32 v7, v22, 20, 11
	s_delay_alu instid0(VALU_DEP_2) | instskip(NEXT) | instid1(VALU_DEP_2)
	v_or_b32_e32 v23, 0x1000, v3
	v_sub_nc_u32_e32 v21, 0x3f1, v7
	s_delay_alu instid0(VALU_DEP_1) | instskip(NEXT) | instid1(VALU_DEP_1)
	v_med3_i32 v21, v21, 0, 13
	v_lshrrev_b32_e32 v31, v21, v23
	s_delay_alu instid0(VALU_DEP_1) | instskip(NEXT) | instid1(VALU_DEP_1)
	v_lshlrev_b32_e32 v21, v21, v31
	v_cmp_ne_u32_e64 s0, v21, v23
	v_cvt_f64_f32_e32 v[23:24], v11
	s_delay_alu instid0(VALU_DEP_1) | instskip(NEXT) | instid1(VALU_DEP_1)
	v_mul_f64 v[23:24], v[23:24], s[10:11]
	v_and_or_b32 v11, 0x1ff, v24, v23
	v_lshrrev_b32_e32 v16, 8, v24
	s_delay_alu instid0(VALU_DEP_2) | instskip(NEXT) | instid1(VALU_DEP_1)
	v_cmp_ne_u32_e64 s1, 0, v11
	v_cndmask_b32_e64 v11, 0, 1, s1
	s_delay_alu instid0(VALU_DEP_1) | instskip(SKIP_1) | instid1(VALU_DEP_2)
	v_and_or_b32 v11, 0xffe, v16, v11
	v_bfe_u32 v16, v24, 20, 11
	v_or_b32_e32 v23, 0x1000, v11
	s_delay_alu instid0(VALU_DEP_2) | instskip(SKIP_2) | instid1(VALU_DEP_3)
	v_sub_nc_u32_e32 v21, 0x3f1, v16
	v_add_nc_u32_e32 v16, 0xfffffc10, v16
	v_cmp_ne_u32_e64 s3, 0, v11
	v_med3_i32 v21, v21, 0, 13
	s_delay_alu instid0(VALU_DEP_1) | instskip(NEXT) | instid1(VALU_DEP_1)
	v_lshrrev_b32_e32 v27, v21, v23
	v_lshlrev_b32_e32 v21, v21, v27
	s_delay_alu instid0(VALU_DEP_1) | instskip(SKIP_1) | instid1(VALU_DEP_2)
	v_cmp_ne_u32_e64 s1, v21, v23
	v_lshl_or_b32 v23, v16, 12, v11
	v_cndmask_b32_e64 v21, 0, 1, s1
	v_cmp_gt_i32_e64 s1, 1, v16
	s_delay_alu instid0(VALU_DEP_2) | instskip(SKIP_1) | instid1(VALU_DEP_2)
	v_or_b32_e32 v21, v27, v21
	v_add_nc_u32_e32 v27, 0xfffffc10, v32
	v_cndmask_b32_e64 v21, v23, v21, s1
	v_cndmask_b32_e64 v23, 0, 1, s2
	s_delay_alu instid0(VALU_DEP_3) | instskip(SKIP_1) | instid1(VALU_DEP_3)
	v_lshl_or_b32 v28, v27, 12, v25
	v_cmp_gt_i32_e64 s1, 1, v27
	v_or_b32_e32 v23, v37, v23
	s_delay_alu instid0(VALU_DEP_1) | instskip(SKIP_1) | instid1(VALU_DEP_2)
	v_cndmask_b32_e64 v23, v28, v23, s1
	v_and_b32_e32 v28, 7, v21
	v_and_b32_e32 v11, 7, v23
	s_delay_alu instid0(VALU_DEP_2) | instskip(SKIP_1) | instid1(VALU_DEP_3)
	v_cmp_lt_i32_e64 s1, 5, v28
	v_cmp_eq_u32_e64 s2, 3, v28
	v_cmp_lt_i32_e64 s4, 5, v11
	v_cmp_eq_u32_e64 s5, 3, v11
	v_lshrrev_b32_e32 v11, 2, v21
	s_delay_alu instid0(VALU_DEP_4) | instskip(SKIP_1) | instid1(VALU_DEP_3)
	s_or_b32 s1, s2, s1
	v_cndmask_b32_e64 v21, 0, 1, s3
	s_or_b32 s2, s5, s4
	s_delay_alu instid0(VALU_DEP_2) | instskip(SKIP_1) | instid1(VALU_DEP_3)
	v_add_co_ci_u32_e64 v11, s1, 0, v11, s1
	v_cmp_gt_i32_e64 s1, 31, v16
	v_lshl_or_b32 v21, v21, 9, 0x7c00
	s_delay_alu instid0(VALU_DEP_2) | instskip(SKIP_2) | instid1(VALU_DEP_2)
	v_cndmask_b32_e64 v11, 0x7c00, v11, s1
	v_cmp_eq_u32_e64 s1, 0x40f, v16
	v_lshrrev_b32_e32 v16, 16, v24
	v_cndmask_b32_e64 v11, v11, v21, s1
	v_lshrrev_b32_e32 v21, 2, v23
	v_cmp_ne_u32_e64 s1, 0, v25
	s_delay_alu instid0(VALU_DEP_3) | instskip(NEXT) | instid1(VALU_DEP_3)
	v_and_or_b32 v11, 0x8000, v16, v11
	v_add_co_ci_u32_e64 v21, s2, 0, v21, s2
	v_cmp_gt_i32_e64 s2, 31, v27
	s_delay_alu instid0(VALU_DEP_4)
	v_cndmask_b32_e64 v23, 0, 1, s1
	v_cmp_eq_u32_e64 s1, 0x40f, v27
	v_and_b32_e32 v11, 0xffff, v11
	scratch_load_b32 v27, off, off offset:112 ; 4-byte Folded Reload
	v_cndmask_b32_e64 v21, 0x7c00, v21, s2
	v_lshl_or_b32 v23, v23, 9, 0x7c00
	s_delay_alu instid0(VALU_DEP_1) | instskip(SKIP_1) | instid1(VALU_DEP_1)
	v_cndmask_b32_e64 v21, v21, v23, s1
	v_lshrrev_b32_e32 v23, 16, v26
	v_and_or_b32 v16, 0x8000, v23, v21
	s_delay_alu instid0(VALU_DEP_1) | instskip(SKIP_3) | instid1(VALU_DEP_1)
	v_lshl_or_b32 v11, v16, 16, v11
	global_store_b32 v[9:10], v11, off
	v_cvt_f32_f16_e32 v11, v19
	v_add_co_u32 v9, s1, v9, s13
	v_add_co_ci_u32_e64 v10, s1, s12, v10, s1
	s_delay_alu instid0(VALU_DEP_3) | instskip(NEXT) | instid1(VALU_DEP_1)
	v_cvt_f64_f32_e32 v[23:24], v11
	v_mul_f64 v[23:24], v[23:24], s[10:11]
	s_delay_alu instid0(VALU_DEP_1) | instskip(SKIP_1) | instid1(VALU_DEP_2)
	v_and_or_b32 v11, 0x1ff, v24, v23
	v_lshrrev_b32_e32 v16, 8, v24
	v_cmp_ne_u32_e64 s1, 0, v11
	s_delay_alu instid0(VALU_DEP_1) | instskip(NEXT) | instid1(VALU_DEP_1)
	v_cndmask_b32_e64 v11, 0, 1, s1
	v_and_or_b32 v11, 0xffe, v16, v11
	v_bfe_u32 v16, v24, 20, 11
	s_delay_alu instid0(VALU_DEP_2) | instskip(NEXT) | instid1(VALU_DEP_2)
	v_or_b32_e32 v21, 0x1000, v11
	v_sub_nc_u32_e32 v19, 0x3f1, v16
	v_add_nc_u32_e32 v16, 0xfffffc10, v16
	v_cmp_ne_u32_e64 s2, 0, v11
	s_delay_alu instid0(VALU_DEP_3) | instskip(NEXT) | instid1(VALU_DEP_1)
	v_med3_i32 v19, v19, 0, 13
	v_lshrrev_b32_e32 v23, v19, v21
	s_delay_alu instid0(VALU_DEP_1) | instskip(NEXT) | instid1(VALU_DEP_1)
	v_lshlrev_b32_e32 v19, v19, v23
	v_cmp_ne_u32_e64 s1, v19, v21
	v_lshl_or_b32 v21, v16, 12, v11
	s_delay_alu instid0(VALU_DEP_2) | instskip(SKIP_1) | instid1(VALU_DEP_2)
	v_cndmask_b32_e64 v19, 0, 1, s1
	v_cmp_gt_i32_e64 s1, 1, v16
	v_or_b32_e32 v19, v23, v19
	v_add_nc_u32_e32 v23, 0xfffffc10, v29
	s_delay_alu instid0(VALU_DEP_2) | instskip(SKIP_1) | instid1(VALU_DEP_3)
	v_cndmask_b32_e64 v19, v21, v19, s1
	v_cndmask_b32_e64 v21, 0, 1, vcc_lo
	v_lshl_or_b32 v25, v23, 12, v5
	v_cmp_gt_i32_e32 vcc_lo, 1, v23
	s_delay_alu instid0(VALU_DEP_3) | instskip(NEXT) | instid1(VALU_DEP_1)
	v_or_b32_e32 v21, v39, v21
	v_cndmask_b32_e32 v21, v25, v21, vcc_lo
	v_and_b32_e32 v25, 7, v19
	s_delay_alu instid0(VALU_DEP_2) | instskip(NEXT) | instid1(VALU_DEP_2)
	v_and_b32_e32 v11, 7, v21
	v_cmp_lt_i32_e32 vcc_lo, 5, v25
	v_cmp_eq_u32_e64 s1, 3, v25
	s_delay_alu instid0(VALU_DEP_3) | instskip(SKIP_2) | instid1(VALU_DEP_4)
	v_cmp_lt_i32_e64 s3, 5, v11
	v_cmp_eq_u32_e64 s4, 3, v11
	v_lshrrev_b32_e32 v11, 2, v19
	s_or_b32 vcc_lo, s1, vcc_lo
	v_cndmask_b32_e64 v19, 0, 1, s2
	s_delay_alu instid0(VALU_DEP_3) | instskip(NEXT) | instid1(VALU_DEP_2)
	s_or_b32 s1, s4, s3
	v_add_co_ci_u32_e32 v11, vcc_lo, 0, v11, vcc_lo
	v_cmp_gt_i32_e32 vcc_lo, 31, v16
	s_delay_alu instid0(VALU_DEP_3) | instskip(NEXT) | instid1(VALU_DEP_3)
	v_lshl_or_b32 v19, v19, 9, 0x7c00
	v_cndmask_b32_e32 v11, 0x7c00, v11, vcc_lo
	v_cmp_eq_u32_e32 vcc_lo, 0x40f, v16
	v_lshrrev_b32_e32 v16, 16, v24
	s_delay_alu instid0(VALU_DEP_3) | instskip(SKIP_2) | instid1(VALU_DEP_3)
	v_cndmask_b32_e32 v11, v11, v19, vcc_lo
	v_cmp_ne_u32_e32 vcc_lo, 0, v5
	v_lshrrev_b32_e32 v5, 2, v21
	v_and_or_b32 v11, 0x8000, v16, v11
	v_cndmask_b32_e64 v19, 0, 1, vcc_lo
	s_delay_alu instid0(VALU_DEP_3) | instskip(SKIP_2) | instid1(VALU_DEP_4)
	v_add_co_ci_u32_e64 v5, s1, 0, v5, s1
	v_cmp_gt_i32_e64 s1, 31, v23
	v_cmp_eq_u32_e32 vcc_lo, 0x40f, v23
	v_lshl_or_b32 v19, v19, 9, 0x7c00
	v_and_b32_e32 v11, 0xffff, v11
	s_delay_alu instid0(VALU_DEP_4) | instskip(NEXT) | instid1(VALU_DEP_1)
	v_cndmask_b32_e64 v5, 0x7c00, v5, s1
	v_cndmask_b32_e32 v5, v5, v19, vcc_lo
	v_lshrrev_b32_e32 v19, 16, v30
	v_add_co_u32 v23, vcc_lo, v9, s13
	v_add_co_ci_u32_e32 v24, vcc_lo, s12, v10, vcc_lo
	s_delay_alu instid0(VALU_DEP_3) | instskip(NEXT) | instid1(VALU_DEP_1)
	v_and_or_b32 v5, 0x8000, v19, v5
	v_lshl_or_b32 v5, v5, 16, v11
	global_store_b32 v[9:10], v5, off
	v_cvt_f32_f16_e32 v5, v40
	s_delay_alu instid0(VALU_DEP_1) | instskip(NEXT) | instid1(VALU_DEP_1)
	v_cvt_f64_f32_e32 v[9:10], v5
	v_mul_f64 v[25:26], v[9:10], s[10:11]
	s_delay_alu instid0(VALU_DEP_1)
	v_and_or_b32 v5, 0x1ff, v26, v25
	scratch_load_b32 v25, off, off offset:116 ; 4-byte Folded Reload
	v_lshrrev_b32_e32 v9, 8, v26
	v_bfe_u32 v16, v26, 20, 11
	v_cmp_ne_u32_e32 vcc_lo, 0, v5
	v_cndmask_b32_e64 v5, 0, 1, vcc_lo
	s_delay_alu instid0(VALU_DEP_1) | instskip(NEXT) | instid1(VALU_DEP_4)
	v_and_or_b32 v5, 0xffe, v9, v5
	v_sub_nc_u32_e32 v9, 0x3f1, v16
	s_delay_alu instid0(VALU_DEP_2) | instskip(NEXT) | instid1(VALU_DEP_2)
	v_or_b32_e32 v10, 0x1000, v5
	v_med3_i32 v9, v9, 0, 13
	s_delay_alu instid0(VALU_DEP_1) | instskip(NEXT) | instid1(VALU_DEP_1)
	v_lshrrev_b32_e32 v19, v9, v10
	v_lshlrev_b32_e32 v9, v9, v19
	s_delay_alu instid0(VALU_DEP_1)
	v_cmp_ne_u32_e32 vcc_lo, v9, v10
	ds_load_2addr_b32 v[10:11], v139 offset0:128 offset1:248
	s_waitcnt lgkmcnt(0)
	v_lshrrev_b32_e32 v9, 16, v10
	s_waitcnt vmcnt(0)
	v_mul_f16_e32 v21, v25, v10
	s_delay_alu instid0(VALU_DEP_2) | instskip(NEXT) | instid1(VALU_DEP_2)
	v_mul_f16_e32 v25, v25, v9
	v_fma_f16 v21, v27, v9, -v21
	s_delay_alu instid0(VALU_DEP_2) | instskip(NEXT) | instid1(VALU_DEP_2)
	v_fmac_f16_e32 v25, v27, v10
	v_cvt_f32_f16_e32 v21, v21
	s_delay_alu instid0(VALU_DEP_2) | instskip(NEXT) | instid1(VALU_DEP_1)
	v_cvt_f32_f16_e32 v9, v25
	v_cvt_f64_f32_e32 v[9:10], v9
	s_delay_alu instid0(VALU_DEP_1) | instskip(NEXT) | instid1(VALU_DEP_1)
	v_mul_f64 v[9:10], v[9:10], s[10:11]
	v_and_or_b32 v9, 0x1ff, v10, v9
	v_lshrrev_b32_e32 v25, 8, v10
	s_delay_alu instid0(VALU_DEP_2) | instskip(NEXT) | instid1(VALU_DEP_1)
	v_cmp_ne_u32_e64 s1, 0, v9
	v_cndmask_b32_e64 v9, 0, 1, s1
	s_delay_alu instid0(VALU_DEP_1) | instskip(SKIP_1) | instid1(VALU_DEP_2)
	v_and_or_b32 v9, 0xffe, v25, v9
	v_bfe_u32 v25, v10, 20, 11
	v_or_b32_e32 v28, 0x1000, v9
	s_delay_alu instid0(VALU_DEP_2) | instskip(NEXT) | instid1(VALU_DEP_1)
	v_sub_nc_u32_e32 v27, 0x3f1, v25
	v_med3_i32 v27, v27, 0, 13
	s_delay_alu instid0(VALU_DEP_1) | instskip(NEXT) | instid1(VALU_DEP_1)
	v_lshrrev_b32_e32 v32, v27, v28
	v_lshlrev_b32_e32 v27, v27, v32
	s_delay_alu instid0(VALU_DEP_1) | instskip(SKIP_1) | instid1(VALU_DEP_1)
	v_cmp_ne_u32_e64 s1, v27, v28
	v_cvt_f64_f32_e32 v[27:28], v21
	v_mul_f64 v[27:28], v[27:28], s[10:11]
	s_delay_alu instid0(VALU_DEP_1) | instskip(SKIP_2) | instid1(VALU_DEP_3)
	v_and_or_b32 v21, 0x1ff, v28, v27
	v_lshrrev_b32_e32 v27, 8, v28
	v_bfe_u32 v33, v28, 20, 11
	v_cmp_ne_u32_e64 s2, 0, v21
	s_delay_alu instid0(VALU_DEP_1) | instskip(NEXT) | instid1(VALU_DEP_1)
	v_cndmask_b32_e64 v21, 0, 1, s2
	v_and_or_b32 v27, 0xffe, v27, v21
	s_delay_alu instid0(VALU_DEP_4) | instskip(NEXT) | instid1(VALU_DEP_2)
	v_sub_nc_u32_e32 v21, 0x3f1, v33
	v_or_b32_e32 v29, 0x1000, v27
	s_delay_alu instid0(VALU_DEP_2) | instskip(NEXT) | instid1(VALU_DEP_1)
	v_med3_i32 v21, v21, 0, 13
	v_lshrrev_b32_e32 v34, v21, v29
	s_delay_alu instid0(VALU_DEP_1) | instskip(NEXT) | instid1(VALU_DEP_1)
	v_lshlrev_b32_e32 v21, v21, v34
	v_cmp_ne_u32_e64 s2, v21, v29
	v_cvt_f64_f32_e32 v[29:30], v1
	s_delay_alu instid0(VALU_DEP_1) | instskip(NEXT) | instid1(VALU_DEP_1)
	v_mul_f64 v[29:30], v[29:30], s[10:11]
	v_and_or_b32 v1, 0x1ff, v30, v29
	v_lshrrev_b32_e32 v14, 8, v30
	s_delay_alu instid0(VALU_DEP_2) | instskip(NEXT) | instid1(VALU_DEP_1)
	v_cmp_ne_u32_e64 s3, 0, v1
	v_cndmask_b32_e64 v1, 0, 1, s3
	s_delay_alu instid0(VALU_DEP_1) | instskip(SKIP_1) | instid1(VALU_DEP_2)
	v_and_or_b32 v1, 0xffe, v14, v1
	v_bfe_u32 v14, v30, 20, 11
	v_or_b32_e32 v29, 0x1000, v1
	s_delay_alu instid0(VALU_DEP_2) | instskip(SKIP_1) | instid1(VALU_DEP_2)
	v_sub_nc_u32_e32 v21, 0x3f1, v14
	v_add_nc_u32_e32 v14, 0xfffffc10, v14
	v_med3_i32 v21, v21, 0, 13
	s_delay_alu instid0(VALU_DEP_1) | instskip(NEXT) | instid1(VALU_DEP_1)
	v_lshrrev_b32_e32 v35, v21, v29
	v_lshlrev_b32_e32 v21, v21, v35
	s_delay_alu instid0(VALU_DEP_1) | instskip(SKIP_1) | instid1(VALU_DEP_2)
	v_cmp_ne_u32_e64 s3, v21, v29
	v_lshl_or_b32 v29, v14, 12, v1
	v_cndmask_b32_e64 v21, 0, 1, s3
	v_cmp_gt_i32_e64 s3, 1, v14
	s_delay_alu instid0(VALU_DEP_2) | instskip(NEXT) | instid1(VALU_DEP_1)
	v_or_b32_e32 v21, v35, v21
	v_cndmask_b32_e64 v21, v29, v21, s3
	s_delay_alu instid0(VALU_DEP_1) | instskip(SKIP_1) | instid1(VALU_DEP_2)
	v_and_b32_e32 v29, 7, v21
	v_lshrrev_b32_e32 v21, 2, v21
	v_cmp_lt_i32_e64 s3, 5, v29
	v_cmp_eq_u32_e64 s4, 3, v29
	v_cndmask_b32_e64 v29, 0, 1, s0
	v_cmp_ne_u32_e64 s0, 0, v1
	v_add_nc_u32_e32 v1, 0xfffffc10, v7
	s_delay_alu instid0(VALU_DEP_4) | instskip(NEXT) | instid1(VALU_DEP_3)
	s_or_b32 s3, s4, s3
	v_or_b32_e32 v29, v31, v29
	v_add_co_ci_u32_e64 v21, s3, 0, v21, s3
	s_delay_alu instid0(VALU_DEP_3) | instskip(SKIP_4) | instid1(VALU_DEP_4)
	v_lshl_or_b32 v7, v1, 12, v3
	v_cmp_gt_i32_e64 s5, 1, v1
	v_cmp_gt_i32_e64 s3, 31, v14
	v_cmp_ne_u32_e64 s4, 0, v3
	v_lshrrev_b32_e32 v3, 16, v30
	v_cndmask_b32_e64 v7, v7, v29, s5
	v_cndmask_b32_e64 v29, 0, 1, s0
	;; [unrolled: 1-line block ×3, first 2 shown]
	v_cmp_eq_u32_e64 s0, 0x40f, v14
	s_delay_alu instid0(VALU_DEP_3) | instskip(NEXT) | instid1(VALU_DEP_1)
	v_lshl_or_b32 v29, v29, 9, 0x7c00
	v_cndmask_b32_e64 v14, v21, v29, s0
	v_and_b32_e32 v21, 7, v7
	v_lshrrev_b32_e32 v7, 2, v7
	s_delay_alu instid0(VALU_DEP_3) | instskip(NEXT) | instid1(VALU_DEP_3)
	v_and_or_b32 v3, 0x8000, v3, v14
	v_cmp_lt_i32_e64 s0, 5, v21
	v_cmp_eq_u32_e64 s3, 3, v21
	v_cndmask_b32_e64 v21, 0, 1, s4
	s_delay_alu instid0(VALU_DEP_4) | instskip(NEXT) | instid1(VALU_DEP_3)
	v_and_b32_e32 v3, 0xffff, v3
	s_or_b32 s0, s3, s0
	s_delay_alu instid0(VALU_DEP_2) | instskip(SKIP_2) | instid1(VALU_DEP_1)
	v_lshl_or_b32 v21, v21, 9, 0x7c00
	v_add_co_ci_u32_e64 v7, s0, 0, v7, s0
	v_cmp_gt_i32_e64 s0, 31, v1
	v_cndmask_b32_e64 v7, 0x7c00, v7, s0
	v_cmp_eq_u32_e64 s0, 0x40f, v1
	s_delay_alu instid0(VALU_DEP_1) | instskip(SKIP_2) | instid1(VALU_DEP_1)
	v_cndmask_b32_e64 v1, v7, v21, s0
	v_lshrrev_b32_e32 v7, 16, v22
	v_add_co_u32 v21, s0, v23, s13
	v_add_co_ci_u32_e64 v22, s0, s12, v24, s0
	s_delay_alu instid0(VALU_DEP_3) | instskip(NEXT) | instid1(VALU_DEP_2)
	v_and_or_b32 v1, 0x8000, v7, v1
	v_mad_u64_u32 v[30:31], null, 0xb40, s8, v[21:22]
	s_delay_alu instid0(VALU_DEP_2) | instskip(SKIP_2) | instid1(VALU_DEP_1)
	v_lshl_or_b32 v1, v1, 16, v3
	global_store_b32 v[23:24], v1, off
	v_cvt_f32_f16_e32 v1, v38
	v_cvt_f64_f32_e32 v[23:24], v1
	s_delay_alu instid0(VALU_DEP_1) | instskip(NEXT) | instid1(VALU_DEP_1)
	v_mul_f64 v[23:24], v[23:24], s[10:11]
	v_and_or_b32 v1, 0x1ff, v24, v23
	v_lshrrev_b32_e32 v3, 8, v24
	s_delay_alu instid0(VALU_DEP_2) | instskip(NEXT) | instid1(VALU_DEP_1)
	v_cmp_ne_u32_e64 s0, 0, v1
	v_cndmask_b32_e64 v1, 0, 1, s0
	s_delay_alu instid0(VALU_DEP_1) | instskip(SKIP_1) | instid1(VALU_DEP_2)
	v_and_or_b32 v1, 0xffe, v3, v1
	v_bfe_u32 v3, v24, 20, 11
	v_or_b32_e32 v14, 0x1000, v1
	s_delay_alu instid0(VALU_DEP_2) | instskip(SKIP_1) | instid1(VALU_DEP_2)
	v_sub_nc_u32_e32 v7, 0x3f1, v3
	v_add_nc_u32_e32 v3, 0xfffffc10, v3
	v_med3_i32 v7, v7, 0, 13
	s_delay_alu instid0(VALU_DEP_1) | instskip(NEXT) | instid1(VALU_DEP_1)
	v_lshrrev_b32_e32 v23, v7, v14
	v_lshlrev_b32_e32 v7, v7, v23
	s_delay_alu instid0(VALU_DEP_1) | instskip(SKIP_1) | instid1(VALU_DEP_2)
	v_cmp_ne_u32_e64 s0, v7, v14
	v_lshl_or_b32 v14, v3, 12, v1
	v_cndmask_b32_e64 v7, 0, 1, s0
	v_cmp_gt_i32_e64 s0, 1, v3
	s_delay_alu instid0(VALU_DEP_2) | instskip(NEXT) | instid1(VALU_DEP_1)
	v_or_b32_e32 v7, v23, v7
	v_cndmask_b32_e64 v7, v14, v7, s0
	s_delay_alu instid0(VALU_DEP_1) | instskip(SKIP_1) | instid1(VALU_DEP_2)
	v_and_b32_e32 v14, 7, v7
	v_lshrrev_b32_e32 v7, 2, v7
	v_cmp_lt_i32_e64 s0, 5, v14
	v_cmp_eq_u32_e64 s3, 3, v14
	v_cndmask_b32_e64 v14, 0, 1, vcc_lo
	v_cmp_ne_u32_e32 vcc_lo, 0, v1
	v_add_nc_u32_e32 v1, 0xfffffc10, v16
	s_delay_alu instid0(VALU_DEP_4) | instskip(NEXT) | instid1(VALU_DEP_3)
	s_or_b32 s0, s3, s0
	v_or_b32_e32 v14, v19, v14
	v_add_co_ci_u32_e64 v7, s0, 0, v7, s0
	s_delay_alu instid0(VALU_DEP_3)
	v_lshl_or_b32 v16, v1, 12, v5
	v_cmp_gt_i32_e64 s4, 1, v1
	v_cmp_gt_i32_e64 s0, 31, v3
	v_cmp_ne_u32_e64 s3, 0, v5
	v_cndmask_b32_e64 v5, 0, 1, s1
	v_cmp_ne_u32_e64 s1, 0, v9
	v_cndmask_b32_e64 v14, v16, v14, s4
	v_cndmask_b32_e64 v16, 0, 1, vcc_lo
	v_cndmask_b32_e64 v7, 0x7c00, v7, s0
	v_cmp_eq_u32_e32 vcc_lo, 0x40f, v3
	v_or_b32_e32 v5, v32, v5
	s_delay_alu instid0(VALU_DEP_4) | instskip(NEXT) | instid1(VALU_DEP_1)
	v_lshl_or_b32 v16, v16, 9, 0x7c00
	v_cndmask_b32_e32 v3, v7, v16, vcc_lo
	v_and_b32_e32 v7, 7, v14
	v_lshrrev_b32_e32 v14, 2, v14
	v_cndmask_b32_e64 v16, 0, 1, s3
	s_delay_alu instid0(VALU_DEP_3) | instskip(SKIP_1) | instid1(VALU_DEP_3)
	v_cmp_lt_i32_e32 vcc_lo, 5, v7
	v_cmp_eq_u32_e64 s0, 3, v7
	v_lshl_or_b32 v16, v16, 9, 0x7c00
	v_lshrrev_b32_e32 v7, 16, v24
	s_delay_alu instid0(VALU_DEP_3) | instskip(SKIP_2) | instid1(VALU_DEP_3)
	s_or_b32 vcc_lo, s0, vcc_lo
	v_add_co_ci_u32_e32 v14, vcc_lo, 0, v14, vcc_lo
	v_cmp_gt_i32_e32 vcc_lo, 31, v1
	v_and_or_b32 v3, 0x8000, v7, v3
	v_cndmask_b32_e64 v7, 0, 1, s2
	s_delay_alu instid0(VALU_DEP_4) | instskip(SKIP_1) | instid1(VALU_DEP_3)
	v_cndmask_b32_e32 v14, 0x7c00, v14, vcc_lo
	v_cmp_eq_u32_e32 vcc_lo, 0x40f, v1
	v_or_b32_e32 v7, v34, v7
	v_and_b32_e32 v3, 0xffff, v3
	s_delay_alu instid0(VALU_DEP_4) | instskip(SKIP_2) | instid1(VALU_DEP_2)
	v_cndmask_b32_e32 v1, v14, v16, vcc_lo
	v_lshrrev_b32_e32 v14, 16, v26
	v_add_nc_u32_e32 v16, 0xfffffc10, v25
	v_and_or_b32 v1, 0x8000, v14, v1
	s_delay_alu instid0(VALU_DEP_2) | instskip(SKIP_2) | instid1(VALU_DEP_4)
	v_lshl_or_b32 v19, v16, 12, v9
	v_cmp_gt_i32_e32 vcc_lo, 1, v16
	v_add_nc_u32_e32 v14, 0xfffffc10, v33
	v_lshl_or_b32 v1, v1, 16, v3
	s_delay_alu instid0(VALU_DEP_4) | instskip(NEXT) | instid1(VALU_DEP_3)
	v_cndmask_b32_e32 v5, v19, v5, vcc_lo
	v_lshl_or_b32 v19, v14, 12, v27
	v_cmp_gt_i32_e32 vcc_lo, 1, v14
	s_delay_alu instid0(VALU_DEP_2) | instskip(NEXT) | instid1(VALU_DEP_4)
	v_cndmask_b32_e32 v7, v19, v7, vcc_lo
	v_and_b32_e32 v19, 7, v5
	v_lshrrev_b32_e32 v5, 2, v5
	s_delay_alu instid0(VALU_DEP_3) | instskip(NEXT) | instid1(VALU_DEP_3)
	v_and_b32_e32 v9, 7, v7
	v_cmp_lt_i32_e32 vcc_lo, 5, v19
	v_cmp_eq_u32_e64 s0, 3, v19
	v_lshrrev_b32_e32 v7, 2, v7
	s_delay_alu instid0(VALU_DEP_4) | instskip(SKIP_1) | instid1(VALU_DEP_4)
	v_cmp_lt_i32_e64 s2, 5, v9
	v_cmp_eq_u32_e64 s3, 3, v9
	s_or_b32 vcc_lo, s0, vcc_lo
	v_cndmask_b32_e64 v9, 0, 1, s1
	v_add_co_ci_u32_e32 v5, vcc_lo, 0, v5, vcc_lo
	v_cmp_gt_i32_e32 vcc_lo, 31, v16
	s_or_b32 s0, s3, s2
	s_delay_alu instid0(VALU_DEP_3) | instskip(SKIP_4) | instid1(VALU_DEP_3)
	v_lshl_or_b32 v9, v9, 9, 0x7c00
	v_add_co_ci_u32_e64 v7, s0, 0, v7, s0
	v_cndmask_b32_e32 v5, 0x7c00, v5, vcc_lo
	v_cmp_eq_u32_e32 vcc_lo, 0x40f, v16
	v_cmp_gt_i32_e64 s0, 31, v14
	v_cndmask_b32_e32 v5, v5, v9, vcc_lo
	v_cmp_ne_u32_e32 vcc_lo, 0, v27
	v_lshrrev_b32_e32 v9, 16, v10
	s_delay_alu instid0(VALU_DEP_4) | instskip(SKIP_2) | instid1(VALU_DEP_4)
	v_cndmask_b32_e64 v7, 0x7c00, v7, s0
	v_cndmask_b32_e64 v10, 0, 1, vcc_lo
	v_cmp_eq_u32_e32 vcc_lo, 0x40f, v14
	v_and_or_b32 v5, 0x8000, v9, v5
	s_delay_alu instid0(VALU_DEP_3) | instskip(NEXT) | instid1(VALU_DEP_2)
	v_lshl_or_b32 v10, v10, 9, 0x7c00
	v_and_b32_e32 v5, 0xffff, v5
	s_delay_alu instid0(VALU_DEP_2) | instskip(SKIP_1) | instid1(VALU_DEP_1)
	v_cndmask_b32_e32 v7, v7, v10, vcc_lo
	v_lshrrev_b32_e32 v10, 16, v28
	v_and_or_b32 v3, 0x8000, v10, v7
	s_delay_alu instid0(VALU_DEP_1)
	v_lshl_or_b32 v3, v3, 16, v5
	global_store_b32 v[21:22], v1, off
	global_store_b32 v[12:13], v3, off
	s_clause 0x3
	scratch_load_b32 v5, off, off offset:100
	scratch_load_b32 v7, off, off offset:96
	;; [unrolled: 1-line block ×4, first 2 shown]
	v_lshrrev_b32_e32 v1, 16, v18
	s_clause 0x1
	scratch_load_b32 v40, off, off offset:76
	scratch_load_b32 v39, off, off offset:72
	s_waitcnt vmcnt(5)
	v_mul_f16_e32 v3, v5, v1
	v_mul_f16_e32 v5, v5, v18
	s_waitcnt vmcnt(4)
	s_delay_alu instid0(VALU_DEP_2) | instskip(NEXT) | instid1(VALU_DEP_2)
	v_fmac_f16_e32 v3, v7, v18
	v_fma_f16 v1, v7, v1, -v5
	scratch_load_b32 v7, off, off offset:108 ; 4-byte Folded Reload
	v_cvt_f32_f16_e32 v1, v1
	s_delay_alu instid0(VALU_DEP_1) | instskip(NEXT) | instid1(VALU_DEP_1)
	v_cvt_f64_f32_e32 v[9:10], v1
	v_mul_f64 v[28:29], v[9:10], s[10:11]
	scratch_load_b32 v9, off, off offset:104 ; 4-byte Folded Reload
	v_and_or_b32 v1, 0x1ff, v29, v28
	v_lshrrev_b32_e32 v5, 8, v29
	v_bfe_u32 v23, v29, 20, 11
	s_delay_alu instid0(VALU_DEP_3) | instskip(SKIP_1) | instid1(VALU_DEP_1)
	v_cmp_ne_u32_e32 vcc_lo, 0, v1
	v_cndmask_b32_e64 v1, 0, 1, vcc_lo
	v_and_or_b32 v16, 0xffe, v5, v1
	s_delay_alu instid0(VALU_DEP_4) | instskip(NEXT) | instid1(VALU_DEP_2)
	v_sub_nc_u32_e32 v1, 0x3f1, v23
	v_or_b32_e32 v5, 0x1000, v16
	s_delay_alu instid0(VALU_DEP_2) | instskip(NEXT) | instid1(VALU_DEP_1)
	v_med3_i32 v1, v1, 0, 13
	v_lshrrev_b32_e32 v32, v1, v5
	s_delay_alu instid0(VALU_DEP_1) | instskip(NEXT) | instid1(VALU_DEP_1)
	v_lshlrev_b32_e32 v1, v1, v32
	v_cmp_ne_u32_e32 vcc_lo, v1, v5
	v_lshrrev_b32_e32 v1, 16, v20
	s_waitcnt vmcnt(1)
	s_delay_alu instid0(VALU_DEP_1) | instskip(SKIP_2) | instid1(VALU_DEP_1)
	v_mul_f16_e32 v5, v7, v1
	v_mul_f16_e32 v7, v7, v20
	s_waitcnt vmcnt(0)
	v_fma_f16 v7, v9, v1, -v7
	v_mov_b32_e32 v1, v31
	v_fmac_f16_e32 v5, v9, v20
	s_delay_alu instid0(VALU_DEP_2) | instskip(NEXT) | instid1(VALU_DEP_2)
	v_mad_u64_u32 v[9:10], null, 0xb40, s9, v[1:2]
	v_cvt_f32_f16_e32 v5, v5
	s_delay_alu instid0(VALU_DEP_2) | instskip(SKIP_4) | instid1(VALU_DEP_1)
	v_mov_b32_e32 v31, v9
	ds_load_2addr_b32 v[9:10], v105 offset0:80 offset1:200
	s_waitcnt lgkmcnt(0)
	v_lshrrev_b32_e32 v26, 16, v9
	v_mul_f16_e32 v1, v37, v9
	v_fma_f16 v1, v36, v26, -v1
	v_mul_f16_e32 v26, v37, v26
	s_delay_alu instid0(VALU_DEP_2) | instskip(NEXT) | instid1(VALU_DEP_2)
	v_cvt_f32_f16_e32 v1, v1
	v_fmac_f16_e32 v26, v36, v9
	s_delay_alu instid0(VALU_DEP_2) | instskip(NEXT) | instid1(VALU_DEP_2)
	v_cvt_f64_f32_e32 v[12:13], v1
	v_cvt_f32_f16_e32 v9, v26
	s_delay_alu instid0(VALU_DEP_2) | instskip(NEXT) | instid1(VALU_DEP_1)
	v_mul_f64 v[13:14], v[12:13], s[10:11]
	v_and_or_b32 v1, 0x1ff, v14, v13
	v_lshrrev_b32_e32 v12, 8, v14
	v_bfe_u32 v24, v14, 20, 11
	v_lshrrev_b32_e32 v14, 16, v14
	s_delay_alu instid0(VALU_DEP_4) | instskip(NEXT) | instid1(VALU_DEP_1)
	v_cmp_ne_u32_e64 s0, 0, v1
	v_cndmask_b32_e64 v1, 0, 1, s0
	s_delay_alu instid0(VALU_DEP_1) | instskip(SKIP_1) | instid1(VALU_DEP_2)
	v_and_or_b32 v21, 0xffe, v12, v1
	v_sub_nc_u32_e32 v1, 0x3f1, v24
	v_or_b32_e32 v12, 0x1000, v21
	s_delay_alu instid0(VALU_DEP_2) | instskip(NEXT) | instid1(VALU_DEP_1)
	v_med3_i32 v1, v1, 0, 13
	v_lshrrev_b32_e32 v25, v1, v12
	s_delay_alu instid0(VALU_DEP_1) | instskip(NEXT) | instid1(VALU_DEP_1)
	v_lshlrev_b32_e32 v1, v1, v25
	v_cmp_ne_u32_e64 s0, v1, v12
	v_cvt_f32_f16_e32 v1, v7
	s_delay_alu instid0(VALU_DEP_1) | instskip(NEXT) | instid1(VALU_DEP_1)
	v_cvt_f64_f32_e32 v[12:13], v1
	v_mul_f64 v[18:19], v[12:13], s[10:11]
	scratch_load_b32 v12, off, off offset:80 ; 4-byte Folded Reload
	v_and_or_b32 v1, 0x1ff, v19, v18
	v_lshrrev_b32_e32 v7, 8, v19
	v_bfe_u32 v27, v19, 20, 11
	s_delay_alu instid0(VALU_DEP_3) | instskip(NEXT) | instid1(VALU_DEP_1)
	v_cmp_ne_u32_e64 s1, 0, v1
	v_cndmask_b32_e64 v1, 0, 1, s1
	s_delay_alu instid0(VALU_DEP_1) | instskip(NEXT) | instid1(VALU_DEP_4)
	v_and_or_b32 v18, 0xffe, v7, v1
	v_sub_nc_u32_e32 v1, 0x3f1, v27
	s_delay_alu instid0(VALU_DEP_2) | instskip(NEXT) | instid1(VALU_DEP_2)
	v_or_b32_e32 v7, 0x1000, v18
	v_med3_i32 v1, v1, 0, 13
	s_delay_alu instid0(VALU_DEP_1) | instskip(NEXT) | instid1(VALU_DEP_1)
	v_lshrrev_b32_e32 v28, v1, v7
	v_lshlrev_b32_e32 v1, v1, v28
	s_delay_alu instid0(VALU_DEP_1) | instskip(SKIP_3) | instid1(VALU_DEP_1)
	v_cmp_ne_u32_e64 s2, v1, v7
	scratch_load_b32 v7, off, off offset:84 ; 4-byte Folded Reload
	v_lshrrev_b32_e32 v1, 16, v8
	s_waitcnt vmcnt(0)
	v_mul_f16_e32 v22, v7, v1
	v_mul_f16_e32 v7, v7, v8
	s_delay_alu instid0(VALU_DEP_2) | instskip(NEXT) | instid1(VALU_DEP_2)
	v_fmac_f16_e32 v22, v12, v8
	v_fma_f16 v33, v12, v1, -v7
	v_cvt_f32_f16_e32 v1, v3
	s_delay_alu instid0(VALU_DEP_1) | instskip(NEXT) | instid1(VALU_DEP_1)
	v_cvt_f64_f32_e32 v[7:8], v1
	v_mul_f64 v[7:8], v[7:8], s[10:11]
	s_delay_alu instid0(VALU_DEP_1) | instskip(SKIP_1) | instid1(VALU_DEP_2)
	v_and_or_b32 v1, 0x1ff, v8, v7
	v_lshrrev_b32_e32 v3, 8, v8
	v_cmp_ne_u32_e64 s1, 0, v1
	s_delay_alu instid0(VALU_DEP_1) | instskip(NEXT) | instid1(VALU_DEP_1)
	v_cndmask_b32_e64 v1, 0, 1, s1
	v_and_or_b32 v1, 0xffe, v3, v1
	v_bfe_u32 v3, v8, 20, 11
	s_delay_alu instid0(VALU_DEP_2) | instskip(NEXT) | instid1(VALU_DEP_2)
	v_or_b32_e32 v12, 0x1000, v1
	v_sub_nc_u32_e32 v7, 0x3f1, v3
	v_add_nc_u32_e32 v3, 0xfffffc10, v3
	s_delay_alu instid0(VALU_DEP_2) | instskip(NEXT) | instid1(VALU_DEP_1)
	v_med3_i32 v7, v7, 0, 13
	v_lshrrev_b32_e32 v13, v7, v12
	s_delay_alu instid0(VALU_DEP_1) | instskip(NEXT) | instid1(VALU_DEP_1)
	v_lshlrev_b32_e32 v7, v7, v13
	v_cmp_ne_u32_e64 s1, v7, v12
	v_lshl_or_b32 v12, v3, 12, v1
	s_delay_alu instid0(VALU_DEP_2) | instskip(SKIP_1) | instid1(VALU_DEP_2)
	v_cndmask_b32_e64 v7, 0, 1, s1
	v_cmp_gt_i32_e64 s1, 1, v3
	v_or_b32_e32 v7, v13, v7
	s_delay_alu instid0(VALU_DEP_1) | instskip(NEXT) | instid1(VALU_DEP_1)
	v_cndmask_b32_e64 v7, v12, v7, s1
	v_and_b32_e32 v12, 7, v7
	v_lshrrev_b32_e32 v7, 2, v7
	s_delay_alu instid0(VALU_DEP_2) | instskip(SKIP_4) | instid1(VALU_DEP_4)
	v_cmp_lt_i32_e64 s1, 5, v12
	v_cmp_eq_u32_e64 s3, 3, v12
	v_cndmask_b32_e64 v12, 0, 1, vcc_lo
	v_cmp_ne_u32_e32 vcc_lo, 0, v1
	v_add_nc_u32_e32 v1, 0xfffffc10, v23
	s_or_b32 s1, s3, s1
	s_delay_alu instid0(VALU_DEP_3) | instskip(SKIP_1) | instid1(VALU_DEP_3)
	v_or_b32_e32 v12, v32, v12
	v_add_co_ci_u32_e64 v7, s1, 0, v7, s1
	v_lshl_or_b32 v13, v1, 12, v16
	v_cmp_gt_i32_e64 s4, 1, v1
	v_cmp_gt_i32_e64 s1, 31, v3
	v_cmp_ne_u32_e64 s3, 0, v16
	s_delay_alu instid0(VALU_DEP_3) | instskip(SKIP_1) | instid1(VALU_DEP_4)
	v_cndmask_b32_e64 v12, v13, v12, s4
	v_cndmask_b32_e64 v13, 0, 1, vcc_lo
	v_cndmask_b32_e64 v7, 0x7c00, v7, s1
	v_cmp_eq_u32_e32 vcc_lo, 0x40f, v3
	s_delay_alu instid0(VALU_DEP_3) | instskip(NEXT) | instid1(VALU_DEP_1)
	v_lshl_or_b32 v13, v13, 9, 0x7c00
	v_cndmask_b32_e32 v3, v7, v13, vcc_lo
	v_and_b32_e32 v7, 7, v12
	s_delay_alu instid0(VALU_DEP_1) | instskip(SKIP_4) | instid1(VALU_DEP_4)
	v_cmp_lt_i32_e32 vcc_lo, 5, v7
	v_cmp_eq_u32_e64 s1, 3, v7
	v_lshrrev_b32_e32 v7, 16, v8
	v_lshrrev_b32_e32 v8, 2, v12
	v_cndmask_b32_e64 v12, 0, 1, s3
	s_or_b32 vcc_lo, s1, vcc_lo
	s_delay_alu instid0(VALU_DEP_3) | instskip(NEXT) | instid1(VALU_DEP_3)
	v_and_or_b32 v3, 0x8000, v7, v3
	v_add_co_ci_u32_e32 v8, vcc_lo, 0, v8, vcc_lo
	v_cmp_gt_i32_e32 vcc_lo, 31, v1
	v_lshl_or_b32 v12, v12, 9, 0x7c00
	s_delay_alu instid0(VALU_DEP_4) | instskip(NEXT) | instid1(VALU_DEP_4)
	v_and_b32_e32 v3, 0xffff, v3
	v_cndmask_b32_e32 v8, 0x7c00, v8, vcc_lo
	v_cmp_eq_u32_e32 vcc_lo, 0x40f, v1
	s_delay_alu instid0(VALU_DEP_2) | instskip(SKIP_2) | instid1(VALU_DEP_2)
	v_cndmask_b32_e32 v1, v8, v12, vcc_lo
	v_lshrrev_b32_e32 v8, 16, v29
	v_add_co_u32 v29, vcc_lo, v30, s13
	v_and_or_b32 v1, 0x8000, v8, v1
	ds_load_2addr_b32 v[7:8], v125 offset0:32 offset1:152
	v_lshl_or_b32 v1, v1, 16, v3
	global_store_b32 v[30:31], v1, off
	v_add_co_ci_u32_e32 v30, vcc_lo, s12, v31, vcc_lo
	scratch_load_b32 v31, off, off offset:64 ; 4-byte Folded Reload
	s_waitcnt lgkmcnt(0)
	v_lshrrev_b32_e32 v20, 16, v7
	v_mul_f16_e32 v1, v40, v7
	s_delay_alu instid0(VALU_DEP_1) | instskip(SKIP_1) | instid1(VALU_DEP_2)
	v_fma_f16 v1, v39, v20, -v1
	v_mul_f16_e32 v20, v40, v20
	v_cvt_f32_f16_e32 v1, v1
	s_delay_alu instid0(VALU_DEP_2) | instskip(NEXT) | instid1(VALU_DEP_2)
	v_fmac_f16_e32 v20, v39, v7
	v_cvt_f64_f32_e32 v[12:13], v1
	s_delay_alu instid0(VALU_DEP_2) | instskip(NEXT) | instid1(VALU_DEP_2)
	v_cvt_f32_f16_e32 v7, v20
	v_mul_f64 v[12:13], v[12:13], s[10:11]
	s_delay_alu instid0(VALU_DEP_1) | instskip(SKIP_1) | instid1(VALU_DEP_2)
	v_and_or_b32 v1, 0x1ff, v13, v12
	v_lshrrev_b32_e32 v3, 8, v13
	v_cmp_ne_u32_e32 vcc_lo, 0, v1
	v_cndmask_b32_e64 v1, 0, 1, vcc_lo
	s_delay_alu instid0(VALU_DEP_1) | instskip(SKIP_1) | instid1(VALU_DEP_2)
	v_and_or_b32 v1, 0xffe, v3, v1
	v_bfe_u32 v3, v13, 20, 11
	v_or_b32_e32 v23, 0x1000, v1
	s_delay_alu instid0(VALU_DEP_2) | instskip(SKIP_1) | instid1(VALU_DEP_2)
	v_sub_nc_u32_e32 v12, 0x3f1, v3
	v_add_nc_u32_e32 v3, 0xfffffc10, v3
	v_med3_i32 v16, v12, 0, 13
	s_delay_alu instid0(VALU_DEP_2) | instskip(NEXT) | instid1(VALU_DEP_2)
	v_cmp_gt_i32_e64 s7, 1, v3
	v_lshrrev_b32_e32 v12, v16, v23
	s_delay_alu instid0(VALU_DEP_1) | instskip(NEXT) | instid1(VALU_DEP_1)
	v_lshlrev_b32_e32 v16, v16, v12
	v_cmp_ne_u32_e32 vcc_lo, v16, v23
	scratch_load_b32 v23, off, off offset:68 ; 4-byte Folded Reload
	v_lshrrev_b32_e32 v16, 16, v17
	s_waitcnt vmcnt(0)
	s_delay_alu instid0(VALU_DEP_1) | instskip(SKIP_1) | instid1(VALU_DEP_2)
	v_mul_f16_e32 v34, v23, v16
	v_mul_f16_e32 v23, v23, v17
	v_fmac_f16_e32 v34, v31, v17
	s_delay_alu instid0(VALU_DEP_2) | instskip(SKIP_1) | instid1(VALU_DEP_1)
	v_fma_f16 v35, v31, v16, -v23
	v_cvt_f32_f16_e32 v16, v22
	v_cvt_f64_f32_e32 v[16:17], v16
	s_delay_alu instid0(VALU_DEP_1) | instskip(NEXT) | instid1(VALU_DEP_1)
	v_mul_f64 v[16:17], v[16:17], s[10:11]
	v_and_or_b32 v16, 0x1ff, v17, v16
	v_lshrrev_b32_e32 v22, 8, v17
	s_delay_alu instid0(VALU_DEP_2) | instskip(NEXT) | instid1(VALU_DEP_1)
	v_cmp_ne_u32_e64 s1, 0, v16
	v_cndmask_b32_e64 v16, 0, 1, s1
	s_delay_alu instid0(VALU_DEP_1) | instskip(SKIP_1) | instid1(VALU_DEP_2)
	v_and_or_b32 v16, 0xffe, v22, v16
	v_bfe_u32 v22, v17, 20, 11
	v_or_b32_e32 v32, 0x1000, v16
	s_delay_alu instid0(VALU_DEP_2) | instskip(NEXT) | instid1(VALU_DEP_1)
	v_sub_nc_u32_e32 v23, 0x3f1, v22
	v_med3_i32 v31, v23, 0, 13
	s_delay_alu instid0(VALU_DEP_1) | instskip(NEXT) | instid1(VALU_DEP_1)
	v_lshrrev_b32_e32 v23, v31, v32
	v_lshlrev_b32_e32 v31, v31, v23
	s_delay_alu instid0(VALU_DEP_1) | instskip(SKIP_1) | instid1(VALU_DEP_1)
	v_cmp_ne_u32_e64 s1, v31, v32
	v_cvt_f64_f32_e32 v[31:32], v9
	v_mul_f64 v[31:32], v[31:32], s[10:11]
	s_delay_alu instid0(VALU_DEP_1) | instskip(SKIP_1) | instid1(VALU_DEP_2)
	v_and_or_b32 v9, 0x1ff, v32, v31
	v_lshrrev_b32_e32 v26, 8, v32
	v_cmp_ne_u32_e64 s3, 0, v9
	s_delay_alu instid0(VALU_DEP_1) | instskip(NEXT) | instid1(VALU_DEP_1)
	v_cndmask_b32_e64 v9, 0, 1, s3
	v_and_or_b32 v9, 0xffe, v26, v9
	v_bfe_u32 v26, v32, 20, 11
	s_delay_alu instid0(VALU_DEP_2) | instskip(NEXT) | instid1(VALU_DEP_2)
	v_or_b32_e32 v36, 0x1000, v9
	v_sub_nc_u32_e32 v31, 0x3f1, v26
	v_add_nc_u32_e32 v26, 0xfffffc10, v26
	s_delay_alu instid0(VALU_DEP_2) | instskip(NEXT) | instid1(VALU_DEP_1)
	v_med3_i32 v31, v31, 0, 13
	v_lshrrev_b32_e32 v37, v31, v36
	s_delay_alu instid0(VALU_DEP_1) | instskip(NEXT) | instid1(VALU_DEP_1)
	v_lshlrev_b32_e32 v31, v31, v37
	v_cmp_ne_u32_e64 s3, v31, v36
	v_lshl_or_b32 v36, v26, 12, v9
	s_delay_alu instid0(VALU_DEP_2) | instskip(SKIP_1) | instid1(VALU_DEP_2)
	v_cndmask_b32_e64 v31, 0, 1, s3
	v_cmp_gt_i32_e64 s3, 1, v26
	v_or_b32_e32 v31, v37, v31
	s_delay_alu instid0(VALU_DEP_1) | instskip(NEXT) | instid1(VALU_DEP_1)
	v_cndmask_b32_e64 v31, v36, v31, s3
	v_and_b32_e32 v36, 7, v31
	s_delay_alu instid0(VALU_DEP_1) | instskip(SKIP_4) | instid1(VALU_DEP_4)
	v_cmp_lt_i32_e64 s3, 5, v36
	v_cmp_eq_u32_e64 s4, 3, v36
	v_cndmask_b32_e64 v36, 0, 1, s0
	v_cmp_ne_u32_e64 s0, 0, v9
	v_add_nc_u32_e32 v9, 0xfffffc10, v24
	s_or_b32 s3, s4, s3
	s_delay_alu instid0(VALU_DEP_3) | instskip(SKIP_1) | instid1(VALU_DEP_3)
	v_or_b32_e32 v25, v25, v36
	v_cmp_ne_u32_e64 s4, 0, v21
	v_lshl_or_b32 v24, v9, 12, v21
	v_cmp_gt_i32_e64 s5, 1, v9
	s_delay_alu instid0(VALU_DEP_1) | instskip(SKIP_3) | instid1(VALU_DEP_4)
	v_cndmask_b32_e64 v24, v24, v25, s5
	v_lshrrev_b32_e32 v25, 2, v31
	v_cndmask_b32_e64 v31, 0, 1, s0
	v_cmp_eq_u32_e64 s0, 0x40f, v26
	v_lshrrev_b32_e32 v21, 2, v24
	s_delay_alu instid0(VALU_DEP_4) | instskip(SKIP_3) | instid1(VALU_DEP_3)
	v_add_co_ci_u32_e64 v25, s3, 0, v25, s3
	v_cmp_gt_i32_e64 s3, 31, v26
	v_lshl_or_b32 v31, v31, 9, 0x7c00
	v_lshrrev_b32_e32 v26, 16, v32
	v_cndmask_b32_e64 v25, 0x7c00, v25, s3
	s_delay_alu instid0(VALU_DEP_1) | instskip(SKIP_2) | instid1(VALU_DEP_2)
	v_cndmask_b32_e64 v25, v25, v31, s0
	v_and_b32_e32 v31, 7, v24
	v_cndmask_b32_e64 v24, 0, 1, s4
	v_cmp_lt_i32_e64 s0, 5, v31
	v_cmp_eq_u32_e64 s3, 3, v31
	s_delay_alu instid0(VALU_DEP_3) | instskip(NEXT) | instid1(VALU_DEP_2)
	v_lshl_or_b32 v24, v24, 9, 0x7c00
	s_or_b32 s0, s3, s0
	s_delay_alu instid0(SALU_CYCLE_1) | instskip(SKIP_1) | instid1(VALU_DEP_1)
	v_add_co_ci_u32_e64 v21, s0, 0, v21, s0
	v_cmp_gt_i32_e64 s0, 31, v9
	v_cndmask_b32_e64 v21, 0x7c00, v21, s0
	v_cmp_eq_u32_e64 s0, 0x40f, v9
	s_delay_alu instid0(VALU_DEP_1) | instskip(SKIP_2) | instid1(VALU_DEP_1)
	v_cndmask_b32_e64 v9, v21, v24, s0
	v_and_or_b32 v21, 0x8000, v26, v25
	v_add_co_u32 v24, s0, v29, s13
	v_add_co_ci_u32_e64 v25, s0, s12, v30, s0
	s_delay_alu instid0(VALU_DEP_4) | instskip(NEXT) | instid1(VALU_DEP_4)
	v_and_or_b32 v9, 0x8000, v14, v9
	v_and_b32_e32 v14, 0xffff, v21
	s_delay_alu instid0(VALU_DEP_1) | instskip(SKIP_2) | instid1(VALU_DEP_1)
	v_lshl_or_b32 v9, v9, 16, v14
	global_store_b32 v[29:30], v9, off
	v_cvt_f64_f32_e32 v[29:30], v5
	v_mul_f64 v[29:30], v[29:30], s[10:11]
	s_delay_alu instid0(VALU_DEP_1) | instskip(SKIP_1) | instid1(VALU_DEP_2)
	v_and_or_b32 v5, 0x1ff, v30, v29
	v_lshrrev_b32_e32 v9, 8, v30
	v_cmp_ne_u32_e64 s0, 0, v5
	s_delay_alu instid0(VALU_DEP_1) | instskip(NEXT) | instid1(VALU_DEP_1)
	v_cndmask_b32_e64 v5, 0, 1, s0
	v_and_or_b32 v5, 0xffe, v9, v5
	v_bfe_u32 v9, v30, 20, 11
	s_delay_alu instid0(VALU_DEP_2) | instskip(NEXT) | instid1(VALU_DEP_2)
	v_or_b32_e32 v21, 0x1000, v5
	v_sub_nc_u32_e32 v14, 0x3f1, v9
	v_add_nc_u32_e32 v9, 0xfffffc10, v9
	v_cmp_ne_u32_e64 s3, 0, v5
	s_delay_alu instid0(VALU_DEP_3) | instskip(NEXT) | instid1(VALU_DEP_1)
	v_med3_i32 v14, v14, 0, 13
	v_lshrrev_b32_e32 v26, v14, v21
	s_delay_alu instid0(VALU_DEP_1) | instskip(NEXT) | instid1(VALU_DEP_1)
	v_lshlrev_b32_e32 v14, v14, v26
	v_cmp_ne_u32_e64 s0, v14, v21
	v_lshl_or_b32 v21, v9, 12, v5
	s_delay_alu instid0(VALU_DEP_2) | instskip(SKIP_1) | instid1(VALU_DEP_2)
	v_cndmask_b32_e64 v14, 0, 1, s0
	v_cmp_gt_i32_e64 s0, 1, v9
	v_or_b32_e32 v14, v26, v14
	v_add_nc_u32_e32 v26, 0xfffffc10, v27
	s_delay_alu instid0(VALU_DEP_2) | instskip(SKIP_1) | instid1(VALU_DEP_3)
	v_cndmask_b32_e64 v14, v21, v14, s0
	v_cndmask_b32_e64 v21, 0, 1, s2
	v_lshl_or_b32 v27, v26, 12, v18
	v_cmp_gt_i32_e64 s0, 1, v26
	s_delay_alu instid0(VALU_DEP_3) | instskip(NEXT) | instid1(VALU_DEP_1)
	v_or_b32_e32 v21, v28, v21
	v_cndmask_b32_e64 v21, v27, v21, s0
	v_and_b32_e32 v27, 7, v14
	s_delay_alu instid0(VALU_DEP_2) | instskip(NEXT) | instid1(VALU_DEP_2)
	v_and_b32_e32 v5, 7, v21
	v_cmp_lt_i32_e64 s0, 5, v27
	v_cmp_eq_u32_e64 s2, 3, v27
	s_delay_alu instid0(VALU_DEP_3) | instskip(SKIP_2) | instid1(VALU_DEP_4)
	v_cmp_lt_i32_e64 s4, 5, v5
	v_cmp_eq_u32_e64 s5, 3, v5
	v_lshrrev_b32_e32 v5, 2, v14
	s_or_b32 s0, s2, s0
	v_cndmask_b32_e64 v14, 0, 1, s3
	s_delay_alu instid0(VALU_DEP_3) | instskip(NEXT) | instid1(VALU_DEP_2)
	s_or_b32 s2, s5, s4
	v_add_co_ci_u32_e64 v5, s0, 0, v5, s0
	v_cmp_gt_i32_e64 s0, 31, v9
	s_delay_alu instid0(VALU_DEP_3) | instskip(NEXT) | instid1(VALU_DEP_2)
	v_lshl_or_b32 v14, v14, 9, 0x7c00
	v_cndmask_b32_e64 v5, 0x7c00, v5, s0
	v_cmp_eq_u32_e64 s0, 0x40f, v9
	v_lshrrev_b32_e32 v9, 16, v30
	s_delay_alu instid0(VALU_DEP_2) | instskip(SKIP_2) | instid1(VALU_DEP_3)
	v_cndmask_b32_e64 v5, v5, v14, s0
	v_lshrrev_b32_e32 v14, 2, v21
	v_cmp_ne_u32_e64 s0, 0, v18
	v_and_or_b32 v5, 0x8000, v9, v5
	s_delay_alu instid0(VALU_DEP_3) | instskip(SKIP_1) | instid1(VALU_DEP_4)
	v_add_co_ci_u32_e64 v14, s2, 0, v14, s2
	v_cmp_gt_i32_e64 s2, 31, v26
	v_cndmask_b32_e64 v18, 0, 1, s0
	v_cmp_eq_u32_e64 s0, 0x40f, v26
	v_and_b32_e32 v5, 0xffff, v5
	s_delay_alu instid0(VALU_DEP_4) | instskip(NEXT) | instid1(VALU_DEP_4)
	v_cndmask_b32_e64 v14, 0x7c00, v14, s2
	v_lshl_or_b32 v18, v18, 9, 0x7c00
	s_delay_alu instid0(VALU_DEP_1) | instskip(SKIP_2) | instid1(VALU_DEP_1)
	v_cndmask_b32_e64 v14, v14, v18, s0
	v_lshrrev_b32_e32 v18, 16, v19
	v_add_co_u32 v28, s0, v24, s13
	v_add_co_ci_u32_e64 v29, s0, s12, v25, s0
	s_delay_alu instid0(VALU_DEP_3) | instskip(SKIP_4) | instid1(VALU_DEP_1)
	v_and_or_b32 v9, 0x8000, v18, v14
	scratch_load_b32 v14, off, off offset:60 ; 4-byte Folded Reload
	v_lshl_or_b32 v5, v9, 16, v5
	global_store_b32 v[24:25], v5, off
	v_cvt_f32_f16_e32 v5, v33
	v_cvt_f64_f32_e32 v[18:19], v5
	s_delay_alu instid0(VALU_DEP_1) | instskip(SKIP_4) | instid1(VALU_DEP_3)
	v_mul_f64 v[30:31], v[18:19], s[10:11]
	scratch_load_b32 v18, off, off offset:56 ; 4-byte Folded Reload
	v_and_or_b32 v5, 0x1ff, v31, v30
	v_lshrrev_b32_e32 v9, 8, v31
	v_bfe_u32 v36, v31, 20, 11
	v_cmp_ne_u32_e64 s0, 0, v5
	s_delay_alu instid0(VALU_DEP_1) | instskip(NEXT) | instid1(VALU_DEP_1)
	v_cndmask_b32_e64 v5, 0, 1, s0
	v_and_or_b32 v30, 0xffe, v9, v5
	s_delay_alu instid0(VALU_DEP_4) | instskip(NEXT) | instid1(VALU_DEP_2)
	v_sub_nc_u32_e32 v5, 0x3f1, v36
	v_or_b32_e32 v9, 0x1000, v30
	s_delay_alu instid0(VALU_DEP_2) | instskip(NEXT) | instid1(VALU_DEP_1)
	v_med3_i32 v5, v5, 0, 13
	v_lshrrev_b32_e32 v37, v5, v9
	s_delay_alu instid0(VALU_DEP_1) | instskip(NEXT) | instid1(VALU_DEP_1)
	v_lshlrev_b32_e32 v5, v5, v37
	v_cmp_ne_u32_e64 s4, v5, v9
	v_lshrrev_b32_e32 v5, 16, v6
	s_waitcnt vmcnt(1)
	s_delay_alu instid0(VALU_DEP_1) | instskip(SKIP_2) | instid1(VALU_DEP_1)
	v_mul_f16_e32 v9, v14, v5
	v_mul_f16_e32 v14, v14, v6
	s_waitcnt vmcnt(0)
	v_fma_f16 v38, v18, v5, -v14
	v_cvt_f32_f16_e32 v5, v34
	v_fmac_f16_e32 v9, v18, v6
	s_delay_alu instid0(VALU_DEP_2) | instskip(NEXT) | instid1(VALU_DEP_1)
	v_cvt_f64_f32_e32 v[5:6], v5
	v_mul_f64 v[18:19], v[5:6], s[10:11]
	s_delay_alu instid0(VALU_DEP_1) | instskip(SKIP_4) | instid1(VALU_DEP_1)
	v_and_or_b32 v5, 0x1ff, v19, v18
	v_lshrrev_b32_e32 v6, 8, v19
	v_bfe_u32 v25, v19, 20, 11
	scratch_load_b32 v18, off, off offset:48 ; 4-byte Folded Reload
	v_cmp_ne_u32_e64 s0, 0, v5
	v_cndmask_b32_e64 v5, 0, 1, s0
	s_delay_alu instid0(VALU_DEP_1) | instskip(SKIP_1) | instid1(VALU_DEP_2)
	v_and_or_b32 v21, 0xffe, v6, v5
	v_sub_nc_u32_e32 v5, 0x3f1, v25
	v_or_b32_e32 v6, 0x1000, v21
	s_delay_alu instid0(VALU_DEP_2) | instskip(NEXT) | instid1(VALU_DEP_1)
	v_med3_i32 v5, v5, 0, 13
	v_lshrrev_b32_e32 v26, v5, v6
	s_delay_alu instid0(VALU_DEP_1) | instskip(NEXT) | instid1(VALU_DEP_1)
	v_lshlrev_b32_e32 v5, v5, v26
	v_cmp_ne_u32_e64 s2, v5, v6
	v_cvt_f32_f16_e32 v5, v35
	s_delay_alu instid0(VALU_DEP_1) | instskip(NEXT) | instid1(VALU_DEP_1)
	v_cvt_f64_f32_e32 v[5:6], v5
	v_mul_f64 v[5:6], v[5:6], s[10:11]
	s_delay_alu instid0(VALU_DEP_1) | instskip(SKIP_2) | instid1(VALU_DEP_3)
	v_and_or_b32 v5, 0x1ff, v6, v5
	v_lshrrev_b32_e32 v14, 8, v6
	v_bfe_u32 v27, v6, 20, 11
	v_cmp_ne_u32_e64 s0, 0, v5
	s_delay_alu instid0(VALU_DEP_1) | instskip(NEXT) | instid1(VALU_DEP_1)
	v_cndmask_b32_e64 v5, 0, 1, s0
	v_and_or_b32 v24, 0xffe, v14, v5
	s_delay_alu instid0(VALU_DEP_4) | instskip(NEXT) | instid1(VALU_DEP_2)
	v_sub_nc_u32_e32 v5, 0x3f1, v27
	v_or_b32_e32 v14, 0x1000, v24
	s_delay_alu instid0(VALU_DEP_2) | instskip(NEXT) | instid1(VALU_DEP_1)
	v_med3_i32 v5, v5, 0, 13
	v_lshrrev_b32_e32 v34, v5, v14
	s_delay_alu instid0(VALU_DEP_1) | instskip(NEXT) | instid1(VALU_DEP_1)
	v_lshlrev_b32_e32 v5, v5, v34
	v_cmp_ne_u32_e64 s3, v5, v14
	scratch_load_b32 v14, off, off offset:52 ; 4-byte Folded Reload
	v_lshrrev_b32_e32 v5, 16, v15
	s_waitcnt vmcnt(0)
	s_delay_alu instid0(VALU_DEP_1) | instskip(SKIP_1) | instid1(VALU_DEP_2)
	v_mul_f16_e32 v35, v14, v5
	v_mul_f16_e32 v14, v14, v15
	v_fmac_f16_e32 v35, v18, v15
	s_delay_alu instid0(VALU_DEP_2) | instskip(SKIP_1) | instid1(VALU_DEP_1)
	v_fma_f16 v18, v18, v5, -v14
	v_cvt_f32_f16_e32 v5, v9
	v_cvt_f64_f32_e32 v[14:15], v5
	s_delay_alu instid0(VALU_DEP_1) | instskip(NEXT) | instid1(VALU_DEP_1)
	v_mul_f64 v[14:15], v[14:15], s[10:11]
	v_and_or_b32 v5, 0x1ff, v15, v14
	v_lshrrev_b32_e32 v9, 8, v15
	s_delay_alu instid0(VALU_DEP_2) | instskip(NEXT) | instid1(VALU_DEP_1)
	v_cmp_ne_u32_e64 s0, 0, v5
	v_cndmask_b32_e64 v5, 0, 1, s0
	s_delay_alu instid0(VALU_DEP_1) | instskip(SKIP_1) | instid1(VALU_DEP_2)
	v_and_or_b32 v5, 0xffe, v9, v5
	v_bfe_u32 v9, v15, 20, 11
	v_or_b32_e32 v33, 0x1000, v5
	s_delay_alu instid0(VALU_DEP_2) | instskip(SKIP_1) | instid1(VALU_DEP_2)
	v_sub_nc_u32_e32 v14, 0x3f1, v9
	v_add_nc_u32_e32 v9, 0xfffffc10, v9
	v_med3_i32 v32, v14, 0, 13
	s_delay_alu instid0(VALU_DEP_1) | instskip(NEXT) | instid1(VALU_DEP_1)
	v_lshrrev_b32_e32 v14, v32, v33
	v_lshlrev_b32_e32 v32, v32, v14
	s_delay_alu instid0(VALU_DEP_1) | instskip(SKIP_1) | instid1(VALU_DEP_1)
	v_cmp_ne_u32_e64 s0, v32, v33
	v_cvt_f64_f32_e32 v[32:33], v7
	v_mul_f64 v[32:33], v[32:33], s[10:11]
	s_delay_alu instid0(VALU_DEP_1) | instskip(SKIP_1) | instid1(VALU_DEP_2)
	v_and_or_b32 v7, 0x1ff, v33, v32
	v_lshrrev_b32_e32 v20, 8, v33
	v_cmp_ne_u32_e64 s5, 0, v7
	s_delay_alu instid0(VALU_DEP_1) | instskip(NEXT) | instid1(VALU_DEP_1)
	v_cndmask_b32_e64 v7, 0, 1, s5
	v_and_or_b32 v7, 0xffe, v20, v7
	v_bfe_u32 v20, v33, 20, 11
	s_delay_alu instid0(VALU_DEP_2) | instskip(NEXT) | instid1(VALU_DEP_2)
	v_or_b32_e32 v39, 0x1000, v7
	v_sub_nc_u32_e32 v32, 0x3f1, v20
	v_add_nc_u32_e32 v20, 0xfffffc10, v20
	s_delay_alu instid0(VALU_DEP_2) | instskip(NEXT) | instid1(VALU_DEP_1)
	v_med3_i32 v32, v32, 0, 13
	v_lshrrev_b32_e32 v40, v32, v39
	s_delay_alu instid0(VALU_DEP_1) | instskip(NEXT) | instid1(VALU_DEP_1)
	v_lshlrev_b32_e32 v32, v32, v40
	v_cmp_ne_u32_e64 s5, v32, v39
	v_lshl_or_b32 v39, v20, 12, v7
	s_delay_alu instid0(VALU_DEP_2) | instskip(SKIP_1) | instid1(VALU_DEP_2)
	v_cndmask_b32_e64 v32, 0, 1, s5
	v_cmp_gt_i32_e64 s5, 1, v20
	v_or_b32_e32 v32, v40, v32
	s_delay_alu instid0(VALU_DEP_1) | instskip(NEXT) | instid1(VALU_DEP_1)
	v_cndmask_b32_e64 v32, v39, v32, s5
	v_and_b32_e32 v39, 7, v32
	s_delay_alu instid0(VALU_DEP_1) | instskip(SKIP_4) | instid1(VALU_DEP_4)
	v_cmp_lt_i32_e64 s5, 5, v39
	v_cmp_eq_u32_e64 s6, 3, v39
	v_cndmask_b32_e64 v39, 0, 1, vcc_lo
	v_cmp_ne_u32_e32 vcc_lo, 0, v7
	v_lshl_or_b32 v7, v3, 12, v1
	s_or_b32 s5, s6, s5
	s_delay_alu instid0(VALU_DEP_3) | instskip(SKIP_2) | instid1(VALU_DEP_3)
	v_or_b32_e32 v12, v12, v39
	v_cmp_ne_u32_e64 s6, 0, v1
	v_lshrrev_b32_e32 v1, 16, v33
	v_cndmask_b32_e64 v7, v7, v12, s7
	v_lshrrev_b32_e32 v12, 2, v32
	v_cndmask_b32_e64 v32, 0, 1, vcc_lo
	v_cmp_eq_u32_e32 vcc_lo, 0x40f, v20
	s_delay_alu instid0(VALU_DEP_3) | instskip(SKIP_1) | instid1(VALU_DEP_4)
	v_add_co_ci_u32_e64 v12, s5, 0, v12, s5
	v_cmp_gt_i32_e64 s5, 31, v20
	v_lshl_or_b32 v32, v32, 9, 0x7c00
	v_and_b32_e32 v20, 7, v7
	v_lshrrev_b32_e32 v7, 2, v7
	s_delay_alu instid0(VALU_DEP_4) | instskip(NEXT) | instid1(VALU_DEP_3)
	v_cndmask_b32_e64 v12, 0x7c00, v12, s5
	v_cmp_eq_u32_e64 s5, 3, v20
	s_delay_alu instid0(VALU_DEP_2) | instskip(SKIP_2) | instid1(VALU_DEP_3)
	v_cndmask_b32_e32 v12, v12, v32, vcc_lo
	v_cmp_lt_i32_e32 vcc_lo, 5, v20
	v_cndmask_b32_e64 v20, 0, 1, s6
	v_and_or_b32 v1, 0x8000, v1, v12
	s_or_b32 vcc_lo, s5, vcc_lo
	s_delay_alu instid0(VALU_DEP_2)
	v_lshl_or_b32 v20, v20, 9, 0x7c00
	v_add_co_ci_u32_e32 v7, vcc_lo, 0, v7, vcc_lo
	v_cmp_gt_i32_e32 vcc_lo, 31, v3
	v_add_nc_u32_e32 v12, 0xfffffc10, v22
	scratch_load_b32 v22, off, off offset:40 ; 4-byte Folded Reload
	v_and_b32_e32 v1, 0xffff, v1
	v_cndmask_b32_e32 v7, 0x7c00, v7, vcc_lo
	v_cmp_eq_u32_e32 vcc_lo, 0x40f, v3
	s_delay_alu instid0(VALU_DEP_2) | instskip(SKIP_4) | instid1(VALU_DEP_3)
	v_cndmask_b32_e32 v3, v7, v20, vcc_lo
	scratch_load_b32 v20, off, off offset:44 ; 4-byte Folded Reload
	v_lshrrev_b32_e32 v7, 16, v13
	v_lshl_or_b32 v13, v12, 12, v16
	v_cmp_gt_i32_e32 vcc_lo, 1, v12
	v_and_or_b32 v3, 0x8000, v7, v3
	v_cndmask_b32_e64 v7, 0, 1, s1
	s_delay_alu instid0(VALU_DEP_2) | instskip(NEXT) | instid1(VALU_DEP_2)
	v_lshl_or_b32 v1, v3, 16, v1
	v_or_b32_e32 v7, v23, v7
	global_store_b32 v[28:29], v1, off
	v_cndmask_b32_e32 v7, v13, v7, vcc_lo
	v_add_nc_u32_e32 v13, 0xfffffc10, v36
	s_delay_alu instid0(VALU_DEP_2) | instskip(SKIP_1) | instid1(VALU_DEP_3)
	v_and_b32_e32 v3, 7, v7
	v_lshrrev_b32_e32 v7, 2, v7
	v_cmp_gt_i32_e64 s5, 1, v13
	s_delay_alu instid0(VALU_DEP_3) | instskip(SKIP_4) | instid1(VALU_DEP_4)
	v_cmp_lt_i32_e32 vcc_lo, 5, v3
	v_cmp_eq_u32_e64 s1, 3, v3
	v_cndmask_b32_e64 v3, 0, 1, s4
	v_cmp_ne_u32_e64 s4, 0, v16
	v_lshl_or_b32 v16, v13, 12, v30
	s_or_b32 vcc_lo, s1, vcc_lo
	s_delay_alu instid0(VALU_DEP_3) | instskip(SKIP_2) | instid1(VALU_DEP_3)
	v_or_b32_e32 v3, v37, v3
	v_add_co_ci_u32_e32 v7, vcc_lo, 0, v7, vcc_lo
	v_cmp_gt_i32_e32 vcc_lo, 31, v12
	v_cndmask_b32_e64 v3, v16, v3, s5
	v_cndmask_b32_e64 v16, 0, 1, s4
	v_cmp_ne_u32_e64 s4, 0, v30
	v_cndmask_b32_e32 v7, 0x7c00, v7, vcc_lo
	v_cmp_eq_u32_e32 vcc_lo, 0x40f, v12
	v_and_b32_e32 v12, 7, v3
	v_lshl_or_b32 v16, v16, 9, 0x7c00
	v_lshrrev_b32_e32 v3, 2, v3
	s_delay_alu instid0(VALU_DEP_3) | instskip(NEXT) | instid1(VALU_DEP_3)
	v_cmp_eq_u32_e64 s1, 3, v12
	v_cndmask_b32_e32 v7, v7, v16, vcc_lo
	v_cmp_lt_i32_e32 vcc_lo, 5, v12
	v_cndmask_b32_e64 v16, 0, 1, s4
	v_lshrrev_b32_e32 v12, 16, v17
	s_or_b32 vcc_lo, s1, vcc_lo
	s_delay_alu instid0(VALU_DEP_2) | instskip(SKIP_3) | instid1(VALU_DEP_3)
	v_lshl_or_b32 v16, v16, 9, 0x7c00
	v_add_co_ci_u32_e32 v3, vcc_lo, 0, v3, vcc_lo
	v_cmp_gt_i32_e32 vcc_lo, 31, v13
	v_and_or_b32 v7, 0x8000, v12, v7
	v_cndmask_b32_e32 v3, 0x7c00, v3, vcc_lo
	v_cmp_eq_u32_e32 vcc_lo, 0x40f, v13
	v_lshrrev_b32_e32 v13, 16, v31
	s_delay_alu instid0(VALU_DEP_3) | instskip(NEXT) | instid1(VALU_DEP_1)
	v_cndmask_b32_e32 v3, v3, v16, vcc_lo
	v_and_or_b32 v1, 0x8000, v13, v3
	v_mad_u64_u32 v[12:13], null, 0xffffcf40, s8, v[28:29]
	v_and_b32_e32 v3, 0xffff, v7
	s_delay_alu instid0(VALU_DEP_1) | instskip(NEXT) | instid1(VALU_DEP_3)
	v_lshl_or_b32 v1, v1, 16, v3
	v_add_nc_u32_e32 v13, s14, v13
	global_store_b32 v[12:13], v1, off
	v_cvt_f32_f16_e32 v1, v38
	v_add_co_u32 v12, vcc_lo, v12, s13
	v_add_co_ci_u32_e32 v13, vcc_lo, s12, v13, vcc_lo
	s_delay_alu instid0(VALU_DEP_3) | instskip(NEXT) | instid1(VALU_DEP_1)
	v_cvt_f64_f32_e32 v[16:17], v1
	v_mul_f64 v[16:17], v[16:17], s[10:11]
	s_delay_alu instid0(VALU_DEP_1) | instskip(SKIP_3) | instid1(VALU_DEP_4)
	v_and_or_b32 v1, 0x1ff, v17, v16
	v_lshrrev_b32_e32 v3, 8, v17
	v_bfe_u32 v16, v17, 20, 11
	v_lshrrev_b32_e32 v17, 16, v17
	v_cmp_ne_u32_e32 vcc_lo, 0, v1
	v_cndmask_b32_e64 v1, 0, 1, vcc_lo
	s_delay_alu instid0(VALU_DEP_1) | instskip(SKIP_1) | instid1(VALU_DEP_2)
	v_and_or_b32 v1, 0xffe, v3, v1
	v_sub_nc_u32_e32 v3, 0x3f1, v16
	v_or_b32_e32 v7, 0x1000, v1
	s_delay_alu instid0(VALU_DEP_2) | instskip(NEXT) | instid1(VALU_DEP_1)
	v_med3_i32 v3, v3, 0, 13
	v_lshrrev_b32_e32 v28, v3, v7
	s_delay_alu instid0(VALU_DEP_1) | instskip(NEXT) | instid1(VALU_DEP_1)
	v_lshlrev_b32_e32 v3, v3, v28
	v_cmp_ne_u32_e32 vcc_lo, v3, v7
	v_lshrrev_b32_e32 v3, 16, v4
	s_waitcnt vmcnt(0)
	s_delay_alu instid0(VALU_DEP_1) | instskip(SKIP_1) | instid1(VALU_DEP_2)
	v_mul_f16_e32 v7, v20, v3
	v_mul_f16_e32 v20, v20, v4
	v_fmac_f16_e32 v7, v22, v4
	s_delay_alu instid0(VALU_DEP_2) | instskip(SKIP_1) | instid1(VALU_DEP_3)
	v_fma_f16 v29, v22, v3, -v20
	v_cvt_f32_f16_e32 v3, v35
	v_cvt_f32_f16_e32 v7, v7
	s_delay_alu instid0(VALU_DEP_2) | instskip(NEXT) | instid1(VALU_DEP_1)
	v_cvt_f64_f32_e32 v[3:4], v3
	v_mul_f64 v[22:23], v[3:4], s[10:11]
	s_delay_alu instid0(VALU_DEP_1) | instskip(SKIP_1) | instid1(VALU_DEP_2)
	v_and_or_b32 v3, 0x1ff, v23, v22
	v_lshrrev_b32_e32 v4, 8, v23
	v_cmp_ne_u32_e64 s1, 0, v3
	s_delay_alu instid0(VALU_DEP_1) | instskip(NEXT) | instid1(VALU_DEP_1)
	v_cndmask_b32_e64 v3, 0, 1, s1
	v_and_or_b32 v22, 0xffe, v4, v3
	v_cndmask_b32_e64 v3, 0, 1, s2
	v_add_nc_u32_e32 v4, 0xfffffc10, v25
	v_add_nc_u32_e32 v25, 0xfffffc10, v27
	s_delay_alu instid0(VALU_DEP_3) | instskip(NEXT) | instid1(VALU_DEP_3)
	v_or_b32_e32 v3, v26, v3
	v_lshl_or_b32 v20, v4, 12, v21
	v_cmp_gt_i32_e64 s1, 1, v4
	s_delay_alu instid0(VALU_DEP_4) | instskip(NEXT) | instid1(VALU_DEP_2)
	v_lshl_or_b32 v26, v25, 12, v24
	v_cndmask_b32_e64 v3, v20, v3, s1
	v_cndmask_b32_e64 v20, 0, 1, s3
	v_cmp_gt_i32_e64 s1, 1, v25
	v_cmp_ne_u32_e64 s3, 0, v21
	s_delay_alu instid0(VALU_DEP_3) | instskip(NEXT) | instid1(VALU_DEP_1)
	v_or_b32_e32 v20, v34, v20
	v_cndmask_b32_e64 v20, v26, v20, s1
	v_and_b32_e32 v26, 7, v3
	v_lshrrev_b32_e32 v3, 2, v3
	s_delay_alu instid0(VALU_DEP_3) | instskip(NEXT) | instid1(VALU_DEP_3)
	v_and_b32_e32 v21, 7, v20
	v_cmp_lt_i32_e64 s1, 5, v26
	v_cmp_eq_u32_e64 s2, 3, v26
	v_bfe_u32 v26, v23, 20, 11
	v_lshrrev_b32_e32 v23, 16, v23
	v_cmp_lt_i32_e64 s4, 5, v21
	v_cmp_eq_u32_e64 s5, 3, v21
	s_or_b32 s1, s2, s1
	v_cndmask_b32_e64 v21, 0, 1, s3
	v_add_co_ci_u32_e64 v3, s1, 0, v3, s1
	v_cmp_gt_i32_e64 s1, 31, v4
	s_or_b32 s2, s5, s4
	s_delay_alu instid0(VALU_DEP_3) | instskip(NEXT) | instid1(VALU_DEP_2)
	v_lshl_or_b32 v21, v21, 9, 0x7c00
	v_cndmask_b32_e64 v3, 0x7c00, v3, s1
	v_cmp_eq_u32_e64 s1, 0x40f, v4
	s_delay_alu instid0(VALU_DEP_1) | instskip(SKIP_3) | instid1(VALU_DEP_3)
	v_cndmask_b32_e64 v21, v3, v21, s1
	v_lshrrev_b32_e32 v3, 2, v20
	v_cmp_ne_u32_e64 s1, 0, v24
	v_lshrrev_b32_e32 v24, 16, v19
	v_add_co_ci_u32_e64 v3, s2, 0, v3, s2
	v_cmp_gt_i32_e64 s2, 31, v25
	s_delay_alu instid0(VALU_DEP_4) | instskip(SKIP_1) | instid1(VALU_DEP_3)
	v_cndmask_b32_e64 v4, 0, 1, s1
	v_cmp_eq_u32_e64 s1, 0x40f, v25
	v_cndmask_b32_e64 v3, 0x7c00, v3, s2
	s_delay_alu instid0(VALU_DEP_3) | instskip(NEXT) | instid1(VALU_DEP_1)
	v_lshl_or_b32 v4, v4, 9, 0x7c00
	v_cndmask_b32_e64 v25, v3, v4, s1
	v_cvt_f64_f32_e32 v[3:4], v7
	v_or_b32_e32 v7, 0x1000, v22
	s_delay_alu instid0(VALU_DEP_2) | instskip(SKIP_4) | instid1(VALU_DEP_4)
	v_mul_f64 v[19:20], v[3:4], s[10:11]
	v_lshrrev_b32_e32 v3, 16, v6
	v_and_or_b32 v4, 0x8000, v24, v21
	v_sub_nc_u32_e32 v6, 0x3f1, v26
	v_add_nc_u32_e32 v26, 0xfffffc10, v26
	v_and_or_b32 v3, 0x8000, v3, v25
	s_delay_alu instid0(VALU_DEP_4) | instskip(SKIP_3) | instid1(VALU_DEP_2)
	v_and_b32_e32 v4, 0xffff, v4
	scratch_load_b32 v25, off, off offset:32 ; 4-byte Folded Reload
	v_med3_i32 v6, v6, 0, 13
	v_lshl_or_b32 v3, v3, 16, v4
	v_lshrrev_b32_e32 v21, v6, v7
	global_store_b32 v[12:13], v3, off
	v_add_co_u32 v3, s2, v12, s13
	scratch_load_b32 v12, off, off offset:36 ; 4-byte Folded Reload
	v_lshlrev_b32_e32 v4, v6, v21
	v_lshrrev_b32_e32 v6, 16, v11
	s_delay_alu instid0(VALU_DEP_2) | instskip(SKIP_3) | instid1(VALU_DEP_2)
	v_cmp_ne_u32_e64 s1, v4, v7
	v_add_co_ci_u32_e64 v4, s2, s12, v13, s2
	v_and_or_b32 v7, 0x1ff, v20, v19
	v_bfe_u32 v19, v20, 20, 11
	v_cmp_ne_u32_e64 s2, 0, v7
	s_delay_alu instid0(VALU_DEP_1) | instskip(SKIP_3) | instid1(VALU_DEP_2)
	v_cndmask_b32_e64 v7, 0, 1, s2
	s_waitcnt vmcnt(0)
	v_mul_f16_e32 v13, v12, v6
	v_mul_f16_e32 v12, v12, v11
	v_fmac_f16_e32 v13, v25, v11
	v_lshrrev_b32_e32 v11, 8, v20
	s_delay_alu instid0(VALU_DEP_3) | instskip(SKIP_1) | instid1(VALU_DEP_4)
	v_fma_f16 v25, v25, v6, -v12
	v_lshrrev_b32_e32 v20, 16, v20
	v_cvt_f32_f16_e32 v13, v13
	s_delay_alu instid0(VALU_DEP_4) | instskip(SKIP_3) | instid1(VALU_DEP_3)
	v_and_or_b32 v24, 0xffe, v11, v7
	v_sub_nc_u32_e32 v7, 0x3f1, v19
	v_cvt_f32_f16_e32 v11, v18
	v_add_nc_u32_e32 v19, 0xfffffc10, v19
	v_med3_i32 v6, v7, 0, 13
	v_or_b32_e32 v7, 0x1000, v24
	s_delay_alu instid0(VALU_DEP_1) | instskip(NEXT) | instid1(VALU_DEP_1)
	v_lshrrev_b32_e32 v27, v6, v7
	v_lshlrev_b32_e32 v6, v6, v27
	s_delay_alu instid0(VALU_DEP_1) | instskip(SKIP_1) | instid1(VALU_DEP_1)
	v_cmp_ne_u32_e64 s2, v6, v7
	v_cvt_f64_f32_e32 v[6:7], v11
	v_mul_f64 v[6:7], v[6:7], s[10:11]
	s_delay_alu instid0(VALU_DEP_1) | instskip(SKIP_1) | instid1(VALU_DEP_2)
	v_and_or_b32 v6, 0x1ff, v7, v6
	v_lshrrev_b32_e32 v11, 8, v7
	v_cmp_ne_u32_e64 s3, 0, v6
	s_delay_alu instid0(VALU_DEP_1) | instskip(NEXT) | instid1(VALU_DEP_1)
	v_cndmask_b32_e64 v6, 0, 1, s3
	v_and_or_b32 v18, 0xffe, v11, v6
	v_cndmask_b32_e64 v6, 0, 1, s0
	v_lshl_or_b32 v11, v9, 12, v5
	v_cmp_gt_i32_e64 s0, 1, v9
	s_delay_alu instid0(VALU_DEP_3) | instskip(NEXT) | instid1(VALU_DEP_1)
	v_or_b32_e32 v6, v14, v6
	v_cndmask_b32_e64 v6, v11, v6, s0
	v_cvt_f32_f16_e32 v11, v29
	s_delay_alu instid0(VALU_DEP_1) | instskip(NEXT) | instid1(VALU_DEP_1)
	v_cvt_f64_f32_e32 v[11:12], v11
	v_mul_f64 v[11:12], v[11:12], s[10:11]
	s_delay_alu instid0(VALU_DEP_1) | instskip(SKIP_1) | instid1(VALU_DEP_2)
	v_and_or_b32 v11, 0x1ff, v12, v11
	v_lshrrev_b32_e32 v14, 8, v12
	v_cmp_ne_u32_e64 s0, 0, v11
	s_delay_alu instid0(VALU_DEP_1) | instskip(NEXT) | instid1(VALU_DEP_1)
	v_cndmask_b32_e64 v11, 0, 1, s0
	v_and_or_b32 v11, 0xffe, v14, v11
	v_and_b32_e32 v14, 7, v6
	v_lshrrev_b32_e32 v6, 2, v6
	s_delay_alu instid0(VALU_DEP_3) | instskip(NEXT) | instid1(VALU_DEP_3)
	v_or_b32_e32 v29, 0x1000, v11
	v_cmp_lt_i32_e64 s0, 5, v14
	v_cmp_eq_u32_e64 s3, 3, v14
	v_cndmask_b32_e64 v14, 0, 1, vcc_lo
	v_cmp_ne_u32_e32 vcc_lo, 0, v5
	v_add_nc_u32_e32 v5, 0xfffffc10, v16
	s_delay_alu instid0(VALU_DEP_4) | instskip(NEXT) | instid1(VALU_DEP_3)
	s_or_b32 s0, s3, s0
	v_or_b32_e32 v14, v28, v14
	v_add_co_ci_u32_e64 v6, s0, 0, v6, s0
	s_delay_alu instid0(VALU_DEP_3) | instskip(SKIP_2) | instid1(VALU_DEP_2)
	v_lshl_or_b32 v16, v5, 12, v1
	v_cmp_gt_i32_e64 s4, 1, v5
	v_cmp_gt_i32_e64 s0, 31, v9
	v_cndmask_b32_e64 v14, v16, v14, s4
	v_cndmask_b32_e64 v16, 0, 1, vcc_lo
	s_delay_alu instid0(VALU_DEP_3)
	v_cndmask_b32_e64 v6, 0x7c00, v6, s0
	v_cmp_eq_u32_e32 vcc_lo, 0x40f, v9
	v_lshrrev_b32_e32 v9, 16, v15
	v_and_b32_e32 v15, 7, v14
	v_lshl_or_b32 v16, v16, 9, 0x7c00
	v_lshrrev_b32_e32 v14, 2, v14
	s_delay_alu instid0(VALU_DEP_3) | instskip(NEXT) | instid1(VALU_DEP_3)
	v_cmp_eq_u32_e64 s0, 3, v15
	v_cndmask_b32_e32 v6, v6, v16, vcc_lo
	v_cmp_lt_i32_e32 vcc_lo, 5, v15
	v_bfe_u32 v15, v7, 20, 11
	v_or_b32_e32 v16, 0x1000, v18
	v_lshrrev_b32_e32 v7, 16, v7
	v_and_or_b32 v9, 0x8000, v9, v6
	s_or_b32 vcc_lo, s0, vcc_lo
	v_sub_nc_u32_e32 v6, 0x3f1, v15
	v_add_co_ci_u32_e32 v14, vcc_lo, 0, v14, vcc_lo
	v_cmp_ne_u32_e32 vcc_lo, 0, v1
	v_add_nc_u32_e32 v15, 0xfffffc10, v15
	s_delay_alu instid0(VALU_DEP_4) | instskip(SKIP_3) | instid1(VALU_DEP_2)
	v_med3_i32 v6, v6, 0, 13
	v_and_b32_e32 v9, 0xffff, v9
	v_cndmask_b32_e64 v1, 0, 1, vcc_lo
	v_cmp_gt_i32_e32 vcc_lo, 31, v5
	v_lshl_or_b32 v1, v1, 9, 0x7c00
	v_cndmask_b32_e32 v14, 0x7c00, v14, vcc_lo
	v_cmp_eq_u32_e32 vcc_lo, 0x40f, v5
	v_cndmask_b32_e64 v5, 0, 1, s1
	s_delay_alu instid0(VALU_DEP_3) | instskip(SKIP_1) | instid1(VALU_DEP_3)
	v_cndmask_b32_e32 v1, v14, v1, vcc_lo
	v_lshrrev_b32_e32 v14, v6, v16
	v_or_b32_e32 v21, v21, v5
	s_delay_alu instid0(VALU_DEP_3) | instskip(NEXT) | instid1(VALU_DEP_3)
	v_and_or_b32 v1, 0x8000, v17, v1
	v_lshlrev_b32_e32 v28, v6, v14
	v_cvt_f64_f32_e32 v[5:6], v13
	v_bfe_u32 v17, v12, 20, 11
	s_delay_alu instid0(VALU_DEP_4) | instskip(NEXT) | instid1(VALU_DEP_4)
	v_lshl_or_b32 v1, v1, 16, v9
	v_cmp_ne_u32_e32 vcc_lo, v28, v16
	v_lshl_or_b32 v16, v26, 12, v22
	global_store_b32 v[3:4], v1, off
	v_cndmask_b32_e64 v13, 0, 1, vcc_lo
	v_cmp_gt_i32_e32 vcc_lo, 1, v26
	s_delay_alu instid0(VALU_DEP_2)
	v_or_b32_e32 v13, v14, v13
	v_lshl_or_b32 v14, v15, 12, v18
	v_cndmask_b32_e32 v16, v16, v21, vcc_lo
	v_cmp_gt_i32_e32 vcc_lo, 1, v15
	v_sub_nc_u32_e32 v21, 0x3f1, v17
	v_add_nc_u32_e32 v17, 0xfffffc10, v17
	s_delay_alu instid0(VALU_DEP_4) | instskip(NEXT) | instid1(VALU_DEP_3)
	v_dual_cndmask_b32 v28, v14, v13 :: v_dual_and_b32 v13, 7, v16
	v_med3_i32 v21, v21, 0, 13
	v_cvt_f32_f16_e32 v14, v25
	v_cndmask_b32_e64 v25, 0, 1, s2
	s_delay_alu instid0(VALU_DEP_4)
	v_and_b32_e32 v9, 7, v28
	v_cmp_lt_i32_e32 vcc_lo, 5, v13
	v_cmp_eq_u32_e64 s0, 3, v13
	v_lshrrev_b32_e32 v13, 2, v16
	v_lshrrev_b32_e32 v16, v21, v29
	v_cmp_lt_i32_e64 s1, 5, v9
	v_cmp_eq_u32_e64 s3, 3, v9
	s_or_b32 vcc_lo, s0, vcc_lo
	v_or_b32_e32 v25, v27, v25
	v_add_co_ci_u32_e32 v9, vcc_lo, 0, v13, vcc_lo
	v_cmp_ne_u32_e32 vcc_lo, 0, v22
	v_lshlrev_b32_e32 v21, v21, v16
	v_cmp_gt_i32_e64 s0, 1, v17
	v_mul_f64 v[5:6], v[5:6], s[10:11]
	scratch_load_b32 v27, off, off offset:20 ; 4-byte Folded Reload
	v_cndmask_b32_e64 v13, 0, 1, vcc_lo
	v_cmp_gt_i32_e32 vcc_lo, 31, v26
	s_delay_alu instid0(VALU_DEP_2) | instskip(SKIP_4) | instid1(VALU_DEP_4)
	v_lshl_or_b32 v22, v13, 9, 0x7c00
	v_cndmask_b32_e32 v9, 0x7c00, v9, vcc_lo
	v_cmp_eq_u32_e32 vcc_lo, 0x40f, v26
	v_lshl_or_b32 v26, v19, 12, v24
	v_cvt_f64_f32_e32 v[13:14], v14
	v_cndmask_b32_e32 v9, v9, v22, vcc_lo
	v_lshrrev_b32_e32 v22, 2, v28
	s_or_b32 vcc_lo, s3, s1
	scratch_load_b32 v28, off, off offset:8 ; 4-byte Folded Reload
	v_and_or_b32 v9, 0x8000, v23, v9
	v_add_co_ci_u32_e32 v22, vcc_lo, 0, v22, vcc_lo
	v_cmp_ne_u32_e32 vcc_lo, 0, v18
	s_delay_alu instid0(VALU_DEP_3) | instskip(SKIP_2) | instid1(VALU_DEP_2)
	v_and_b32_e32 v9, 0xffff, v9
	v_cndmask_b32_e64 v18, 0, 1, vcc_lo
	v_cmp_gt_i32_e32 vcc_lo, 31, v15
	v_lshl_or_b32 v18, v18, 9, 0x7c00
	v_cndmask_b32_e32 v22, 0x7c00, v22, vcc_lo
	v_cmp_gt_i32_e32 vcc_lo, 1, v19
	v_and_or_b32 v1, 0x1ff, v6, v5
	v_cndmask_b32_e32 v25, v26, v25, vcc_lo
	v_cmp_eq_u32_e32 vcc_lo, 0x40f, v15
	scratch_load_b32 v26, off, off offset:24 ; 4-byte Folded Reload
	v_cmp_ne_u32_e64 s1, 0, v1
	v_cndmask_b32_e32 v15, v22, v18, vcc_lo
	v_cmp_ne_u32_e32 vcc_lo, v21, v29
	v_and_b32_e32 v21, 7, v25
	s_delay_alu instid0(VALU_DEP_4)
	v_cndmask_b32_e64 v1, 0, 1, s1
	v_mul_f64 v[13:14], v[13:14], s[10:11]
	v_and_or_b32 v7, 0x8000, v7, v15
	v_cndmask_b32_e64 v18, 0, 1, vcc_lo
	v_cmp_lt_i32_e32 vcc_lo, 5, v21
	v_bfe_u32 v22, v6, 20, 11
	scratch_load_b32 v29, off, off offset:12 ; 4-byte Folded Reload
	v_lshl_or_b32 v7, v7, 16, v9
	v_or_b32_e32 v16, v16, v18
	v_lshl_or_b32 v18, v17, 12, v11
	s_delay_alu instid0(VALU_DEP_1)
	v_cndmask_b32_e64 v15, v18, v16, s0
	v_lshrrev_b32_e32 v18, 2, v25
	scratch_load_b32 v25, off, off offset:28 ; 4-byte Folded Reload
	v_lshrrev_b32_e32 v16, 16, v2
	v_cmp_eq_u32_e64 s0, 3, v21
	v_and_b32_e32 v5, 7, v15
	v_lshrrev_b32_e32 v15, 2, v15
	s_delay_alu instid0(VALU_DEP_3) | instskip(NEXT) | instid1(VALU_DEP_2)
	s_or_b32 vcc_lo, s0, vcc_lo
	v_cmp_lt_i32_e64 s1, 5, v5
	v_add_co_ci_u32_e32 v18, vcc_lo, 0, v18, vcc_lo
	v_cmp_eq_u32_e64 s2, 3, v5
	v_lshrrev_b32_e32 v5, 8, v6
	v_cmp_ne_u32_e32 vcc_lo, 0, v24
	s_delay_alu instid0(VALU_DEP_2) | instskip(SKIP_2) | instid1(VALU_DEP_2)
	v_and_or_b32 v5, 0xffe, v5, v1
	v_cndmask_b32_e64 v1, 0, 1, vcc_lo
	v_cmp_gt_i32_e32 vcc_lo, 31, v19
	v_lshl_or_b32 v23, v1, 9, 0x7c00
	v_cndmask_b32_e32 v18, 0x7c00, v18, vcc_lo
	v_cmp_eq_u32_e32 vcc_lo, 0x40f, v19
	v_and_or_b32 v13, 0x1ff, v14, v13
	s_delay_alu instid0(VALU_DEP_3)
	v_cndmask_b32_e32 v18, v18, v23, vcc_lo
	s_or_b32 vcc_lo, s2, s1
	v_add_co_ci_u32_e32 v15, vcc_lo, 0, v15, vcc_lo
	v_cmp_ne_u32_e32 vcc_lo, 0, v11
	v_cndmask_b32_e64 v11, 0, 1, vcc_lo
	v_cmp_gt_i32_e32 vcc_lo, 31, v17
	s_delay_alu instid0(VALU_DEP_2)
	v_lshl_or_b32 v11, v11, 9, 0x7c00
	v_cndmask_b32_e32 v23, 0x7c00, v15, vcc_lo
	v_cmp_ne_u32_e32 vcc_lo, 0, v13
	v_cndmask_b32_e64 v13, 0, 1, vcc_lo
	s_waitcnt vmcnt(0)
	v_mul_f16_e32 v21, v25, v16
	v_mul_f16_e32 v24, v25, v2
	v_sub_nc_u32_e32 v25, 0x3f1, v22
	v_add_nc_u32_e32 v22, 0xfffffc10, v22
	s_delay_alu instid0(VALU_DEP_4) | instskip(NEXT) | instid1(VALU_DEP_4)
	v_fmac_f16_e32 v21, v26, v2
	v_fma_f16 v16, v26, v16, -v24
	s_delay_alu instid0(VALU_DEP_4) | instskip(SKIP_1) | instid1(VALU_DEP_4)
	v_med3_i32 v25, v25, 0, 13
	v_bfe_u32 v26, v14, 20, 11
	v_cvt_f32_f16_e32 v21, v21
	s_delay_alu instid0(VALU_DEP_4) | instskip(NEXT) | instid1(VALU_DEP_2)
	v_cvt_f32_f16_e32 v15, v16
	v_cvt_f64_f32_e32 v[1:2], v21
	v_or_b32_e32 v21, 0x1000, v5
	s_delay_alu instid0(VALU_DEP_3) | instskip(NEXT) | instid1(VALU_DEP_2)
	v_cvt_f64_f32_e32 v[15:16], v15
	v_lshrrev_b32_e32 v19, v25, v21
	s_delay_alu instid0(VALU_DEP_1) | instskip(SKIP_2) | instid1(VALU_DEP_3)
	v_lshlrev_b32_e32 v24, v25, v19
	v_lshrrev_b32_e32 v25, 8, v14
	v_lshrrev_b32_e32 v14, 16, v14
	v_cmp_ne_u32_e32 vcc_lo, v24, v21
	s_delay_alu instid0(VALU_DEP_3) | instskip(SKIP_4) | instid1(VALU_DEP_4)
	v_and_or_b32 v13, 0xffe, v25, v13
	v_sub_nc_u32_e32 v24, 0x3f1, v26
	v_lshrrev_b32_e32 v25, 16, v12
	v_cndmask_b32_e64 v21, 0, 1, vcc_lo
	v_cmp_eq_u32_e32 vcc_lo, 0x40f, v17
	v_med3_i32 v24, v24, 0, 13
	s_delay_alu instid0(VALU_DEP_3) | instskip(SKIP_4) | instid1(VALU_DEP_4)
	v_or_b32_e32 v19, v19, v21
	v_cndmask_b32_e32 v17, v23, v11, vcc_lo
	v_lshl_or_b32 v21, v22, 12, v5
	v_cmp_gt_i32_e32 vcc_lo, 1, v22
	v_or_b32_e32 v23, 0x1000, v13
	v_and_or_b32 v9, 0x8000, v25, v17
	v_mul_f64 v[11:12], v[1:2], s[10:11]
	v_dual_cndmask_b32 v2, v21, v19 :: v_dual_add_nc_u32 v21, 0xfffffc10, v26
	scratch_load_b32 v26, off, off offset:16 ; 4-byte Folded Reload
	v_and_or_b32 v1, 0x8000, v20, v18
	v_lshrrev_b32_e32 v18, v24, v23
	v_and_b32_e32 v17, 7, v2
	v_lshrrev_b32_e32 v20, 16, v10
	v_add_co_u32 v3, vcc_lo, v3, s13
	s_delay_alu instid0(VALU_DEP_4)
	v_lshlrev_b32_e32 v19, v24, v18
	v_add_co_ci_u32_e32 v4, vcc_lo, s12, v4, vcc_lo
	v_cmp_lt_i32_e32 vcc_lo, 5, v17
	v_cmp_eq_u32_e64 s0, 3, v17
	v_mul_f16_e32 v17, v27, v20
	v_lshrrev_b32_e32 v2, 2, v2
	v_cmp_ne_u32_e64 s1, v19, v23
	v_mul_f64 v[15:16], v[15:16], s[10:11]
	s_or_b32 vcc_lo, s0, vcc_lo
	v_and_b32_e32 v1, 0xffff, v1
	v_add_co_ci_u32_e32 v2, vcc_lo, 0, v2, vcc_lo
	v_cndmask_b32_e64 v19, 0, 1, s1
	v_cmp_ne_u32_e32 vcc_lo, 0, v5
	v_lshl_or_b32 v23, v21, 12, v13
	v_lshl_or_b32 v24, v9, 16, v1
	s_delay_alu instid0(VALU_DEP_4) | instskip(SKIP_2) | instid1(VALU_DEP_2)
	v_or_b32_e32 v19, v18, v19
	v_cndmask_b32_e64 v5, 0, 1, vcc_lo
	v_cmp_gt_i32_e32 vcc_lo, 1, v21
	v_lshl_or_b32 v5, v5, 9, 0x7c00
	s_delay_alu instid0(VALU_DEP_4) | instskip(SKIP_2) | instid1(VALU_DEP_3)
	v_cndmask_b32_e32 v9, v23, v19, vcc_lo
	v_cmp_gt_i32_e32 vcc_lo, 31, v22
	v_and_or_b32 v11, 0x1ff, v12, v11
	v_and_b32_e32 v23, 7, v9
	v_cndmask_b32_e32 v19, 0x7c00, v2, vcc_lo
	v_add_co_u32 v1, vcc_lo, v3, s13
	v_add_co_ci_u32_e32 v2, vcc_lo, s12, v4, vcc_lo
	v_cmp_eq_u32_e32 vcc_lo, 0x40f, v22
	v_cmp_ne_u32_e64 s0, 0, v11
	v_lshrrev_b32_e32 v11, 8, v12
	v_bfe_u32 v22, v12, 20, 11
	global_store_b32 v[3:4], v7, off
	global_store_b32 v[1:2], v24, off
	v_cndmask_b32_e32 v19, v19, v5, vcc_lo
	v_cmp_lt_i32_e32 vcc_lo, 5, v23
	v_cndmask_b32_e64 v5, 0, 1, s0
	v_cmp_eq_u32_e64 s0, 3, v23
	v_lshrrev_b32_e32 v23, 16, v6
	v_lshrrev_b32_e32 v6, 2, v9
	v_mul_f16_e32 v9, v27, v10
	v_and_or_b32 v11, 0xffe, v11, v5
	s_or_b32 vcc_lo, s0, vcc_lo
	v_sub_nc_u32_e32 v5, 0x3f1, v22
	v_add_co_ci_u32_e32 v6, vcc_lo, 0, v6, vcc_lo
	v_cmp_ne_u32_e32 vcc_lo, 0, v13
	v_or_b32_e32 v25, 0x1000, v11
	s_delay_alu instid0(VALU_DEP_4)
	v_med3_i32 v5, v5, 0, 13
	v_and_or_b32 v13, 0x1ff, v16, v15
	scratch_load_b32 v24, off, off          ; 4-byte Folded Reload
	v_add_nc_u32_e32 v22, 0xfffffc10, v22
	v_and_or_b32 v19, 0x8000, v23, v19
	v_lshrrev_b32_e32 v15, v5, v25
	v_lshrrev_b32_e32 v12, 16, v12
	s_delay_alu instid0(VALU_DEP_3) | instskip(NEXT) | instid1(VALU_DEP_3)
	v_and_b32_e32 v19, 0xffff, v19
	v_lshlrev_b32_e32 v27, v5, v15
	s_waitcnt vmcnt(1)
	v_fmac_f16_e32 v17, v26, v10
	v_cndmask_b32_e64 v10, 0, 1, vcc_lo
	v_cmp_gt_i32_e32 vcc_lo, 31, v21
	v_fma_f16 v9, v26, v20, -v9
	s_delay_alu instid0(VALU_DEP_4) | instskip(NEXT) | instid1(VALU_DEP_4)
	v_cvt_f32_f16_e32 v17, v17
	v_lshl_or_b32 v26, v10, 9, 0x7c00
	v_cndmask_b32_e32 v20, 0x7c00, v6, vcc_lo
	v_cmp_ne_u32_e32 vcc_lo, 0, v13
	v_cvt_f32_f16_e32 v9, v9
	v_cvt_f64_f32_e32 v[17:18], v17
	v_cndmask_b32_e64 v13, 0, 1, vcc_lo
	v_cmp_eq_u32_e32 vcc_lo, 0x40f, v21
	s_delay_alu instid0(VALU_DEP_4) | instskip(SKIP_3) | instid1(VALU_DEP_3)
	v_cvt_f64_f32_e32 v[9:10], v9
	v_cndmask_b32_e32 v20, v20, v26, vcc_lo
	v_cmp_ne_u32_e32 vcc_lo, v27, v25
	v_lshrrev_b32_e32 v26, 16, v0
	v_and_or_b32 v14, 0x8000, v14, v20
	v_cndmask_b32_e64 v21, 0, 1, vcc_lo
	v_cmp_gt_i32_e32 vcc_lo, 1, v22
	s_delay_alu instid0(VALU_DEP_3) | instskip(NEXT) | instid1(VALU_DEP_3)
	v_lshl_or_b32 v3, v14, 16, v19
	v_or_b32_e32 v15, v15, v21
	v_lshl_or_b32 v21, v22, 12, v11
	s_delay_alu instid0(VALU_DEP_1) | instskip(SKIP_1) | instid1(VALU_DEP_2)
	v_cndmask_b32_e32 v15, v21, v15, vcc_lo
	v_mul_f16_e32 v21, v29, v26
	v_and_b32_e32 v20, 7, v15
	s_delay_alu instid0(VALU_DEP_2) | instskip(SKIP_2) | instid1(VALU_DEP_4)
	v_fmac_f16_e32 v21, v28, v0
	v_lshrrev_b32_e32 v15, 2, v15
	v_mul_f16_e32 v0, v29, v0
	v_cmp_lt_i32_e32 vcc_lo, 5, v20
	s_delay_alu instid0(VALU_DEP_4)
	v_cvt_f32_f16_e32 v4, v21
	v_mul_f64 v[5:6], v[17:18], s[10:11]
	v_lshrrev_b32_e32 v17, 8, v16
	v_bfe_u32 v18, v16, 20, 11
	v_fma_f16 v0, v28, v26, -v0
	v_lshrrev_b32_e32 v16, 16, v16
	s_delay_alu instid0(VALU_DEP_4) | instskip(NEXT) | instid1(VALU_DEP_4)
	v_and_or_b32 v17, 0xffe, v17, v13
	v_sub_nc_u32_e32 v13, 0x3f1, v18
	v_add_nc_u32_e32 v18, 0xfffffc10, v18
	v_cvt_f32_f16_e32 v0, v0
	s_delay_alu instid0(VALU_DEP_4) | instskip(NEXT) | instid1(VALU_DEP_4)
	v_or_b32_e32 v25, 0x1000, v17
	v_med3_i32 v13, v13, 0, 13
	s_delay_alu instid0(VALU_DEP_1) | instskip(NEXT) | instid1(VALU_DEP_1)
	v_lshrrev_b32_e32 v27, v13, v25
	v_lshlrev_b32_e32 v13, v13, v27
	s_delay_alu instid0(VALU_DEP_1)
	v_cmp_ne_u32_e64 s0, v13, v25
	scratch_load_b32 v25, off, off offset:4 ; 4-byte Folded Reload
	v_cvt_f64_f32_e32 v[13:14], v4
	v_cndmask_b32_e64 v7, 0, 1, s0
	v_cmp_eq_u32_e64 s0, 3, v20
	v_lshl_or_b32 v20, v18, 12, v17
	s_delay_alu instid0(VALU_DEP_3) | instskip(SKIP_1) | instid1(VALU_DEP_4)
	v_or_b32_e32 v7, v27, v7
	v_and_or_b32 v19, 0x1ff, v6, v5
	s_or_b32 vcc_lo, s0, vcc_lo
	v_mul_f64 v[4:5], v[9:10], s[10:11]
	v_add_co_ci_u32_e32 v15, vcc_lo, 0, v15, vcc_lo
	s_delay_alu instid0(VALU_DEP_3) | instskip(SKIP_3) | instid1(VALU_DEP_4)
	v_cmp_ne_u32_e64 s1, 0, v19
	v_cmp_gt_i32_e32 vcc_lo, 1, v18
	v_lshrrev_b32_e32 v10, 8, v6
	v_bfe_u32 v19, v6, 20, 11
	v_cndmask_b32_e64 v9, 0, 1, s1
	v_cndmask_b32_e32 v7, v20, v7, vcc_lo
	v_cmp_ne_u32_e32 vcc_lo, 0, v11
	v_cmp_eq_u32_e64 s1, 0x40f, v22
	s_delay_alu instid0(VALU_DEP_4)
	v_and_or_b32 v20, 0xffe, v10, v9
	v_sub_nc_u32_e32 v9, 0x3f1, v19
	v_cndmask_b32_e64 v10, 0, 1, vcc_lo
	v_and_b32_e32 v11, 7, v7
	v_cmp_gt_i32_e32 vcc_lo, 31, v22
	v_or_b32_e32 v21, 0x1000, v20
	v_med3_i32 v9, v9, 0, 13
	v_lshrrev_b32_e32 v7, 2, v7
	v_cmp_eq_u32_e64 s0, 3, v11
	v_cndmask_b32_e32 v15, 0x7c00, v15, vcc_lo
	v_cmp_lt_i32_e32 vcc_lo, 5, v11
	v_lshl_or_b32 v10, v10, 9, 0x7c00
	v_lshrrev_b32_e32 v23, v9, v21
	s_or_b32 vcc_lo, s0, vcc_lo
	s_delay_alu instid0(VALU_DEP_2) | instskip(SKIP_1) | instid1(VALU_DEP_3)
	v_cndmask_b32_e64 v11, v15, v10, s1
	v_add_co_ci_u32_e32 v7, vcc_lo, 0, v7, vcc_lo
	v_lshlrev_b32_e32 v15, v9, v23
	v_cmp_ne_u32_e32 vcc_lo, 0, v17
	v_mul_f64 v[9:10], v[13:14], s[10:11]
	v_cndmask_b32_e64 v17, 0, 1, vcc_lo
	s_delay_alu instid0(VALU_DEP_4)
	v_cmp_ne_u32_e32 vcc_lo, v15, v21
	v_add_nc_u32_e32 v15, 0xfffffc10, v19
	v_and_or_b32 v4, 0x1ff, v5, v4
	v_and_or_b32 v19, 0x8000, v12, v11
	v_lshl_or_b32 v14, v17, 9, 0x7c00
	v_cndmask_b32_e64 v13, 0, 1, vcc_lo
	v_cmp_gt_i32_e32 vcc_lo, 31, v18
	v_lshl_or_b32 v17, v15, 12, v20
	v_cvt_f64_f32_e32 v[11:12], v0
	v_lshrrev_b32_e32 v21, 16, v8
	v_or_b32_e32 v13, v23, v13
	v_cndmask_b32_e32 v7, 0x7c00, v7, vcc_lo
	v_cmp_gt_i32_e32 vcc_lo, 1, v15
	v_bfe_u32 v0, v5, 20, 11
	v_and_b32_e32 v19, 0xffff, v19
	v_cndmask_b32_e32 v13, v17, v13, vcc_lo
	v_cmp_ne_u32_e32 vcc_lo, 0, v4
	v_lshrrev_b32_e32 v17, 8, v5
	v_lshrrev_b32_e32 v5, 16, v5
	v_cndmask_b32_e64 v4, 0, 1, vcc_lo
	v_cmp_eq_u32_e32 vcc_lo, 0x40f, v18
	s_delay_alu instid0(VALU_DEP_2) | instskip(SKIP_2) | instid1(VALU_DEP_3)
	v_and_or_b32 v4, 0xffe, v17, v4
	v_dual_cndmask_b32 v7, v7, v14 :: v_dual_and_b32 v14, 7, v13
	v_sub_nc_u32_e32 v17, 0x3f1, v0
	v_or_b32_e32 v22, 0x1000, v4
	s_delay_alu instid0(VALU_DEP_3) | instskip(NEXT) | instid1(VALU_DEP_4)
	v_and_or_b32 v16, 0x8000, v16, v7
	v_cmp_lt_i32_e32 vcc_lo, 5, v14
	v_cmp_eq_u32_e64 s0, 3, v14
	v_lshrrev_b32_e32 v7, 2, v13
	v_med3_i32 v17, v17, 0, 13
	v_and_or_b32 v9, 0x1ff, v10, v9
	v_lshl_or_b32 v16, v16, 16, v19
	s_or_b32 vcc_lo, s0, vcc_lo
	s_delay_alu instid0(VALU_DEP_3) | instskip(SKIP_2) | instid1(VALU_DEP_1)
	v_lshrrev_b32_e32 v23, v17, v22
	s_waitcnt vmcnt(0)
	v_mul_f16_e32 v18, v25, v21
	v_fmac_f16_e32 v18, v24, v8
	v_mul_f16_e32 v8, v25, v8
	s_delay_alu instid0(VALU_DEP_2) | instskip(SKIP_3) | instid1(VALU_DEP_4)
	v_cvt_f32_f16_e32 v13, v18
	v_add_co_ci_u32_e32 v18, vcc_lo, 0, v7, vcc_lo
	v_cmp_ne_u32_e32 vcc_lo, 0, v20
	v_lshlrev_b32_e32 v7, v17, v23
	v_cvt_f64_f32_e32 v[13:14], v13
	v_fma_f16 v8, v24, v21, -v8
	v_lshrrev_b32_e32 v20, 8, v10
	v_cndmask_b32_e64 v17, 0, 1, vcc_lo
	v_cmp_ne_u32_e32 vcc_lo, 0, v9
	v_add_nc_u32_e32 v24, 0xfffffc10, v0
	v_cvt_f32_f16_e32 v0, v8
	s_delay_alu instid0(VALU_DEP_4)
	v_lshl_or_b32 v17, v17, 9, 0x7c00
	v_cndmask_b32_e64 v9, 0, 1, vcc_lo
	v_cmp_ne_u32_e32 vcc_lo, v7, v22
	v_bfe_u32 v22, v10, 20, 11
	v_mul_f64 v[7:8], v[11:12], s[10:11]
	v_cvt_f64_f32_e32 v[11:12], v0
	v_and_or_b32 v9, 0xffe, v20, v9
	v_cndmask_b32_e64 v21, 0, 1, vcc_lo
	v_sub_nc_u32_e32 v20, 0x3f1, v22
	v_cmp_gt_i32_e32 vcc_lo, 31, v15
	v_lshrrev_b32_e32 v10, 16, v10
	v_or_b32_e32 v25, 0x1000, v9
	v_or_b32_e32 v21, v23, v21
	v_lshl_or_b32 v23, v24, 12, v4
	v_med3_i32 v20, v20, 0, 13
	v_cndmask_b32_e32 v18, 0x7c00, v18, vcc_lo
	v_cmp_gt_i32_e32 vcc_lo, 1, v24
	s_delay_alu instid0(VALU_DEP_3) | instskip(SKIP_3) | instid1(VALU_DEP_4)
	v_lshrrev_b32_e32 v26, v20, v25
	v_cndmask_b32_e32 v21, v23, v21, vcc_lo
	v_add_co_u32 v0, vcc_lo, v1, s13
	v_add_co_ci_u32_e32 v1, vcc_lo, s12, v2, vcc_lo
	v_lshlrev_b32_e32 v2, v20, v26
	s_delay_alu instid0(VALU_DEP_4) | instskip(SKIP_2) | instid1(VALU_DEP_4)
	v_and_b32_e32 v20, 7, v21
	v_cmp_eq_u32_e32 vcc_lo, 0x40f, v15
	v_mul_f64 v[13:14], v[13:14], s[10:11]
	v_cmp_ne_u32_e64 s1, v2, v25
	s_delay_alu instid0(VALU_DEP_4)
	v_cmp_eq_u32_e64 s0, 3, v20
	v_cndmask_b32_e32 v15, v18, v17, vcc_lo
	v_cmp_lt_i32_e32 vcc_lo, 5, v20
	v_lshrrev_b32_e32 v17, 16, v6
	v_lshrrev_b32_e32 v6, 2, v21
	v_cndmask_b32_e64 v2, 0, 1, s1
	v_add_nc_u32_e32 v18, 0xfffffc10, v22
	s_or_b32 vcc_lo, s0, vcc_lo
	v_and_or_b32 v15, 0x8000, v17, v15
	v_add_co_ci_u32_e32 v6, vcc_lo, 0, v6, vcc_lo
	v_cmp_ne_u32_e32 vcc_lo, 0, v4
	v_and_or_b32 v21, 0x1ff, v8, v7
	v_or_b32_e32 v2, v26, v2
	v_lshl_or_b32 v19, v18, 12, v9
	v_bfe_u32 v22, v8, 20, 11
	v_cndmask_b32_e64 v4, 0, 1, vcc_lo
	v_cmp_gt_i32_e32 vcc_lo, 31, v24
	v_and_b32_e32 v15, 0xffff, v15
	s_delay_alu instid0(VALU_DEP_3)
	v_lshl_or_b32 v4, v4, 9, 0x7c00
	v_cndmask_b32_e32 v20, 0x7c00, v6, vcc_lo
	v_mul_f64 v[6:7], v[11:12], s[10:11]
	v_add_co_u32 v11, vcc_lo, v0, s13
	v_add_co_ci_u32_e32 v12, vcc_lo, s12, v1, vcc_lo
	v_cmp_gt_i32_e32 vcc_lo, 1, v18
	v_cndmask_b32_e32 v2, v19, v2, vcc_lo
	v_cmp_ne_u32_e32 vcc_lo, 0, v21
	v_lshrrev_b32_e32 v21, 8, v8
	v_and_or_b32 v13, 0x1ff, v14, v13
	v_bfe_u32 v23, v14, 20, 11
	v_lshrrev_b32_e32 v8, 16, v8
	v_cndmask_b32_e64 v19, 0, 1, vcc_lo
	v_cmp_eq_u32_e32 vcc_lo, 0x40f, v24
	s_delay_alu instid0(VALU_DEP_2) | instskip(SKIP_4) | instid1(VALU_DEP_4)
	v_and_or_b32 v19, 0xffe, v21, v19
	v_cndmask_b32_e32 v4, v20, v4, vcc_lo
	v_and_b32_e32 v20, 7, v2
	v_sub_nc_u32_e32 v21, 0x3f1, v22
	v_lshrrev_b32_e32 v2, 2, v2
	v_and_or_b32 v4, 0x8000, v5, v4
	s_delay_alu instid0(VALU_DEP_4) | instskip(SKIP_4) | instid1(VALU_DEP_4)
	v_cmp_lt_i32_e32 vcc_lo, 5, v20
	v_cmp_eq_u32_e64 s0, 3, v20
	v_or_b32_e32 v5, 0x1000, v19
	v_med3_i32 v17, v21, 0, 13
	v_lshrrev_b32_e32 v21, 8, v14
	s_or_b32 vcc_lo, s0, vcc_lo
	v_add_co_ci_u32_e32 v2, vcc_lo, 0, v2, vcc_lo
	s_delay_alu instid0(VALU_DEP_3)
	v_lshrrev_b32_e32 v20, v17, v5
	v_cmp_ne_u32_e32 vcc_lo, 0, v13
	v_and_or_b32 v6, 0x1ff, v7, v6
	v_lshrrev_b32_e32 v24, 8, v7
	v_bfe_u32 v25, v7, 20, 11
	v_lshlrev_b32_e32 v17, v17, v20
	v_cndmask_b32_e64 v13, 0, 1, vcc_lo
	v_cmp_ne_u32_e32 vcc_lo, 0, v9
	v_lshrrev_b32_e32 v7, 16, v7
	s_delay_alu instid0(VALU_DEP_3)
	v_and_or_b32 v13, 0xffe, v21, v13
	v_cndmask_b32_e64 v9, 0, 1, vcc_lo
	v_cmp_ne_u32_e32 vcc_lo, v17, v5
	v_sub_nc_u32_e32 v21, 0x3f1, v23
	v_add_nc_u32_e32 v17, 0xfffffc10, v22
	v_or_b32_e32 v22, 0x1000, v13
	v_lshl_or_b32 v9, v9, 9, 0x7c00
	v_cndmask_b32_e64 v5, 0, 1, vcc_lo
	v_cmp_gt_i32_e32 vcc_lo, 31, v18
	v_med3_i32 v21, v21, 0, 13
	s_delay_alu instid0(VALU_DEP_3)
	v_or_b32_e32 v5, v20, v5
	v_cndmask_b32_e32 v2, 0x7c00, v2, vcc_lo
	v_cmp_ne_u32_e32 vcc_lo, 0, v6
	v_lshl_or_b32 v20, v17, 12, v19
	v_lshrrev_b32_e32 v26, v21, v22
	v_cndmask_b32_e64 v6, 0, 1, vcc_lo
	v_cmp_gt_i32_e32 vcc_lo, 1, v17
	s_delay_alu instid0(VALU_DEP_2) | instskip(SKIP_3) | instid1(VALU_DEP_4)
	v_and_or_b32 v6, 0xffe, v24, v6
	v_sub_nc_u32_e32 v24, 0x3f1, v25
	v_dual_cndmask_b32 v5, v20, v5 :: v_dual_lshlrev_b32 v20, v21, v26
	v_cmp_eq_u32_e32 vcc_lo, 0x40f, v18
	v_or_b32_e32 v21, 0x1000, v6
	s_delay_alu instid0(VALU_DEP_4)
	v_med3_i32 v24, v24, 0, 13
	v_add_nc_u32_e32 v18, 0xfffffc10, v23
	v_and_b32_e32 v27, 7, v5
	v_cndmask_b32_e32 v2, v2, v9, vcc_lo
	v_cmp_ne_u32_e32 vcc_lo, v20, v22
	v_lshrrev_b32_e32 v20, v24, v21
	v_lshl_or_b32 v22, v18, 12, v13
	v_cmp_gt_i32_e64 s1, 1, v18
	v_cmp_eq_u32_e64 s0, 3, v27
	v_cndmask_b32_e64 v9, 0, 1, vcc_lo
	v_lshlrev_b32_e32 v23, v24, v20
	v_cmp_lt_i32_e32 vcc_lo, 5, v27
	v_lshrrev_b32_e32 v5, 2, v5
	v_and_or_b32 v2, 0x8000, v10, v2
	v_or_b32_e32 v9, v26, v9
	s_or_b32 vcc_lo, s0, vcc_lo
	s_delay_alu instid0(VALU_DEP_3) | instskip(NEXT) | instid1(VALU_DEP_2)
	v_add_co_ci_u32_e32 v5, vcc_lo, 0, v5, vcc_lo
	v_cndmask_b32_e64 v9, v22, v9, s1
	v_cmp_ne_u32_e64 s1, v23, v21
	v_add_nc_u32_e32 v22, 0xfffffc10, v25
	v_cmp_ne_u32_e32 vcc_lo, 0, v19
	v_and_b32_e32 v2, 0xffff, v2
	v_and_b32_e32 v23, 7, v9
	v_cndmask_b32_e64 v21, 0, 1, s1
	v_cmp_gt_i32_e64 s0, 1, v22
	v_cndmask_b32_e64 v19, 0, 1, vcc_lo
	v_lshrrev_b32_e32 v9, 2, v9
	v_cmp_lt_i32_e32 vcc_lo, 5, v23
	v_or_b32_e32 v20, v20, v21
	v_lshl_or_b32 v21, v22, 12, v6
	v_cmp_gt_i32_e64 s1, 31, v17
	v_lshl_or_b32 v19, v19, 9, 0x7c00
	s_delay_alu instid0(VALU_DEP_3) | instskip(SKIP_1) | instid1(VALU_DEP_4)
	v_cndmask_b32_e64 v10, v21, v20, s0
	v_cmp_eq_u32_e64 s0, 3, v23
	v_cndmask_b32_e64 v5, 0x7c00, v5, s1
	v_cmp_eq_u32_e64 s1, 0x40f, v17
	s_delay_alu instid0(VALU_DEP_4) | instskip(NEXT) | instid1(VALU_DEP_4)
	v_and_b32_e32 v20, 7, v10
	s_or_b32 vcc_lo, s0, vcc_lo
	v_lshrrev_b32_e32 v10, 2, v10
	v_add_co_ci_u32_e32 v9, vcc_lo, 0, v9, vcc_lo
	v_cmp_ne_u32_e32 vcc_lo, 0, v13
	v_cmp_eq_u32_e64 s0, 3, v20
	v_cndmask_b32_e64 v5, v5, v19, s1
	v_cmp_gt_i32_e64 s1, 31, v18
	v_cndmask_b32_e64 v13, 0, 1, vcc_lo
	v_cmp_lt_i32_e32 vcc_lo, 5, v20
	s_delay_alu instid0(VALU_DEP_4) | instskip(NEXT) | instid1(VALU_DEP_4)
	v_and_or_b32 v8, 0x8000, v8, v5
	v_cndmask_b32_e64 v9, 0x7c00, v9, s1
	s_delay_alu instid0(VALU_DEP_4) | instskip(SKIP_1) | instid1(VALU_DEP_3)
	v_lshl_or_b32 v13, v13, 9, 0x7c00
	s_or_b32 vcc_lo, s0, vcc_lo
	v_lshl_or_b32 v2, v8, 16, v2
	v_add_co_ci_u32_e32 v10, vcc_lo, 0, v10, vcc_lo
	v_cmp_ne_u32_e32 vcc_lo, 0, v6
	v_cndmask_b32_e64 v6, 0, 1, vcc_lo
	v_cmp_eq_u32_e32 vcc_lo, 0x40f, v18
	s_delay_alu instid0(VALU_DEP_2)
	v_lshl_or_b32 v6, v6, 9, 0x7c00
	v_cndmask_b32_e32 v9, v9, v13, vcc_lo
	v_cmp_gt_i32_e32 vcc_lo, 31, v22
	v_lshrrev_b32_e32 v13, 16, v14
	v_lshl_or_b32 v14, v4, 16, v15
	v_cndmask_b32_e32 v10, 0x7c00, v10, vcc_lo
	v_cmp_eq_u32_e32 vcc_lo, 0x40f, v22
	s_delay_alu instid0(VALU_DEP_4) | instskip(NEXT) | instid1(VALU_DEP_3)
	v_and_or_b32 v9, 0x8000, v13, v9
	v_cndmask_b32_e32 v6, v10, v6, vcc_lo
	v_add_co_u32 v4, vcc_lo, v11, s13
	v_add_co_ci_u32_e32 v5, vcc_lo, s12, v12, vcc_lo
	s_delay_alu instid0(VALU_DEP_3) | instskip(SKIP_1) | instid1(VALU_DEP_4)
	v_and_or_b32 v8, 0x8000, v7, v6
	v_and_b32_e32 v9, 0xffff, v9
	v_add_co_u32 v6, vcc_lo, v4, s13
	s_delay_alu instid0(VALU_DEP_4) | instskip(NEXT) | instid1(VALU_DEP_3)
	v_add_co_ci_u32_e32 v7, vcc_lo, s12, v5, vcc_lo
	v_lshl_or_b32 v10, v8, 16, v9
	s_delay_alu instid0(VALU_DEP_3) | instskip(NEXT) | instid1(VALU_DEP_3)
	v_add_co_u32 v8, vcc_lo, v6, s13
	v_add_co_ci_u32_e32 v9, vcc_lo, s12, v7, vcc_lo
	global_store_b32 v[0:1], v3, off
	global_store_b32 v[11:12], v16, off
	;; [unrolled: 1-line block ×5, first 2 shown]
.LBB0_2:
	s_nop 0
	s_sendmsg sendmsg(MSG_DEALLOC_VGPRS)
	s_endpgm
	.section	.rodata,"a",@progbits
	.p2align	6, 0x0
	.amdhsa_kernel bluestein_single_fwd_len3600_dim1_half_op_CI_CI
		.amdhsa_group_segment_fixed_size 14400
		.amdhsa_private_segment_fixed_size 228
		.amdhsa_kernarg_size 104
		.amdhsa_user_sgpr_count 15
		.amdhsa_user_sgpr_dispatch_ptr 0
		.amdhsa_user_sgpr_queue_ptr 0
		.amdhsa_user_sgpr_kernarg_segment_ptr 1
		.amdhsa_user_sgpr_dispatch_id 0
		.amdhsa_user_sgpr_private_segment_size 0
		.amdhsa_wavefront_size32 1
		.amdhsa_uses_dynamic_stack 0
		.amdhsa_enable_private_segment 1
		.amdhsa_system_sgpr_workgroup_id_x 1
		.amdhsa_system_sgpr_workgroup_id_y 0
		.amdhsa_system_sgpr_workgroup_id_z 0
		.amdhsa_system_sgpr_workgroup_info 0
		.amdhsa_system_vgpr_workitem_id 0
		.amdhsa_next_free_vgpr 256
		.amdhsa_next_free_sgpr 20
		.amdhsa_reserve_vcc 1
		.amdhsa_float_round_mode_32 0
		.amdhsa_float_round_mode_16_64 0
		.amdhsa_float_denorm_mode_32 3
		.amdhsa_float_denorm_mode_16_64 3
		.amdhsa_dx10_clamp 1
		.amdhsa_ieee_mode 1
		.amdhsa_fp16_overflow 0
		.amdhsa_workgroup_processor_mode 1
		.amdhsa_memory_ordered 1
		.amdhsa_forward_progress 0
		.amdhsa_shared_vgpr_count 0
		.amdhsa_exception_fp_ieee_invalid_op 0
		.amdhsa_exception_fp_denorm_src 0
		.amdhsa_exception_fp_ieee_div_zero 0
		.amdhsa_exception_fp_ieee_overflow 0
		.amdhsa_exception_fp_ieee_underflow 0
		.amdhsa_exception_fp_ieee_inexact 0
		.amdhsa_exception_int_div_zero 0
	.end_amdhsa_kernel
	.text
.Lfunc_end0:
	.size	bluestein_single_fwd_len3600_dim1_half_op_CI_CI, .Lfunc_end0-bluestein_single_fwd_len3600_dim1_half_op_CI_CI
                                        ; -- End function
	.section	.AMDGPU.csdata,"",@progbits
; Kernel info:
; codeLenInByte = 56388
; NumSgprs: 22
; NumVgprs: 256
; ScratchSize: 228
; MemoryBound: 0
; FloatMode: 240
; IeeeMode: 1
; LDSByteSize: 14400 bytes/workgroup (compile time only)
; SGPRBlocks: 2
; VGPRBlocks: 31
; NumSGPRsForWavesPerEU: 22
; NumVGPRsForWavesPerEU: 256
; Occupancy: 5
; WaveLimiterHint : 1
; COMPUTE_PGM_RSRC2:SCRATCH_EN: 1
; COMPUTE_PGM_RSRC2:USER_SGPR: 15
; COMPUTE_PGM_RSRC2:TRAP_HANDLER: 0
; COMPUTE_PGM_RSRC2:TGID_X_EN: 1
; COMPUTE_PGM_RSRC2:TGID_Y_EN: 0
; COMPUTE_PGM_RSRC2:TGID_Z_EN: 0
; COMPUTE_PGM_RSRC2:TIDIG_COMP_CNT: 0
	.text
	.p2alignl 7, 3214868480
	.fill 96, 4, 3214868480
	.type	__hip_cuid_99b7fdc51865bcfe,@object ; @__hip_cuid_99b7fdc51865bcfe
	.section	.bss,"aw",@nobits
	.globl	__hip_cuid_99b7fdc51865bcfe
__hip_cuid_99b7fdc51865bcfe:
	.byte	0                               ; 0x0
	.size	__hip_cuid_99b7fdc51865bcfe, 1

	.ident	"AMD clang version 19.0.0git (https://github.com/RadeonOpenCompute/llvm-project roc-6.4.0 25133 c7fe45cf4b819c5991fe208aaa96edf142730f1d)"
	.section	".note.GNU-stack","",@progbits
	.addrsig
	.addrsig_sym __hip_cuid_99b7fdc51865bcfe
	.amdgpu_metadata
---
amdhsa.kernels:
  - .args:
      - .actual_access:  read_only
        .address_space:  global
        .offset:         0
        .size:           8
        .value_kind:     global_buffer
      - .actual_access:  read_only
        .address_space:  global
        .offset:         8
        .size:           8
        .value_kind:     global_buffer
      - .actual_access:  read_only
        .address_space:  global
        .offset:         16
        .size:           8
        .value_kind:     global_buffer
      - .actual_access:  read_only
        .address_space:  global
        .offset:         24
        .size:           8
        .value_kind:     global_buffer
      - .actual_access:  read_only
        .address_space:  global
        .offset:         32
        .size:           8
        .value_kind:     global_buffer
      - .offset:         40
        .size:           8
        .value_kind:     by_value
      - .address_space:  global
        .offset:         48
        .size:           8
        .value_kind:     global_buffer
      - .address_space:  global
        .offset:         56
        .size:           8
        .value_kind:     global_buffer
      - .address_space:  global
        .offset:         64
        .size:           8
        .value_kind:     global_buffer
      - .address_space:  global
        .offset:         72
        .size:           8
        .value_kind:     global_buffer
      - .offset:         80
        .size:           4
        .value_kind:     by_value
      - .address_space:  global
        .offset:         88
        .size:           8
        .value_kind:     global_buffer
      - .address_space:  global
        .offset:         96
        .size:           8
        .value_kind:     global_buffer
    .group_segment_fixed_size: 14400
    .kernarg_segment_align: 8
    .kernarg_segment_size: 104
    .language:       OpenCL C
    .language_version:
      - 2
      - 0
    .max_flat_workgroup_size: 120
    .name:           bluestein_single_fwd_len3600_dim1_half_op_CI_CI
    .private_segment_fixed_size: 228
    .sgpr_count:     22
    .sgpr_spill_count: 0
    .symbol:         bluestein_single_fwd_len3600_dim1_half_op_CI_CI.kd
    .uniform_work_group_size: 1
    .uses_dynamic_stack: false
    .vgpr_count:     256
    .vgpr_spill_count: 56
    .wavefront_size: 32
    .workgroup_processor_mode: 1
amdhsa.target:   amdgcn-amd-amdhsa--gfx1100
amdhsa.version:
  - 1
  - 2
...

	.end_amdgpu_metadata
